;; amdgpu-corpus repo=ROCm/rocFFT kind=compiled arch=gfx1030 opt=O3
	.text
	.amdgcn_target "amdgcn-amd-amdhsa--gfx1030"
	.amdhsa_code_object_version 6
	.protected	fft_rtc_back_len1352_factors_2_13_13_4_wgs_52_tpt_52_halfLds_half_op_CI_CI_unitstride_sbrr_R2C_dirReg ; -- Begin function fft_rtc_back_len1352_factors_2_13_13_4_wgs_52_tpt_52_halfLds_half_op_CI_CI_unitstride_sbrr_R2C_dirReg
	.globl	fft_rtc_back_len1352_factors_2_13_13_4_wgs_52_tpt_52_halfLds_half_op_CI_CI_unitstride_sbrr_R2C_dirReg
	.p2align	8
	.type	fft_rtc_back_len1352_factors_2_13_13_4_wgs_52_tpt_52_halfLds_half_op_CI_CI_unitstride_sbrr_R2C_dirReg,@function
fft_rtc_back_len1352_factors_2_13_13_4_wgs_52_tpt_52_halfLds_half_op_CI_CI_unitstride_sbrr_R2C_dirReg: ; @fft_rtc_back_len1352_factors_2_13_13_4_wgs_52_tpt_52_halfLds_half_op_CI_CI_unitstride_sbrr_R2C_dirReg
; %bb.0:
	s_clause 0x2
	s_load_dwordx4 s[12:15], s[4:5], 0x0
	s_load_dwordx4 s[8:11], s[4:5], 0x58
	;; [unrolled: 1-line block ×3, first 2 shown]
	v_mul_u32_u24_e32 v1, 0x4ed, v0
	v_mov_b32_e32 v3, 0
	v_add_nc_u32_sdwa v5, s6, v1 dst_sel:DWORD dst_unused:UNUSED_PAD src0_sel:DWORD src1_sel:WORD_1
	v_mov_b32_e32 v1, 0
	v_mov_b32_e32 v6, v3
	v_mov_b32_e32 v2, 0
	s_waitcnt lgkmcnt(0)
	v_cmp_lt_u64_e64 s0, s[14:15], 2
	s_and_b32 vcc_lo, exec_lo, s0
	s_cbranch_vccnz .LBB0_8
; %bb.1:
	s_load_dwordx2 s[0:1], s[4:5], 0x10
	v_mov_b32_e32 v1, 0
	v_mov_b32_e32 v2, 0
	s_add_u32 s2, s18, 8
	s_addc_u32 s3, s19, 0
	s_add_u32 s6, s16, 8
	s_addc_u32 s7, s17, 0
	v_mov_b32_e32 v27, v2
	v_mov_b32_e32 v26, v1
	s_mov_b64 s[22:23], 1
	s_waitcnt lgkmcnt(0)
	s_add_u32 s20, s0, 8
	s_addc_u32 s21, s1, 0
.LBB0_2:                                ; =>This Inner Loop Header: Depth=1
	s_load_dwordx2 s[24:25], s[20:21], 0x0
                                        ; implicit-def: $vgpr30_vgpr31
	s_mov_b32 s0, exec_lo
	s_waitcnt lgkmcnt(0)
	v_or_b32_e32 v4, s25, v6
	v_cmpx_ne_u64_e32 0, v[3:4]
	s_xor_b32 s1, exec_lo, s0
	s_cbranch_execz .LBB0_4
; %bb.3:                                ;   in Loop: Header=BB0_2 Depth=1
	v_cvt_f32_u32_e32 v4, s24
	v_cvt_f32_u32_e32 v7, s25
	s_sub_u32 s0, 0, s24
	s_subb_u32 s26, 0, s25
	v_fmac_f32_e32 v4, 0x4f800000, v7
	v_rcp_f32_e32 v4, v4
	v_mul_f32_e32 v4, 0x5f7ffffc, v4
	v_mul_f32_e32 v7, 0x2f800000, v4
	v_trunc_f32_e32 v7, v7
	v_fmac_f32_e32 v4, 0xcf800000, v7
	v_cvt_u32_f32_e32 v7, v7
	v_cvt_u32_f32_e32 v4, v4
	v_mul_lo_u32 v8, s0, v7
	v_mul_hi_u32 v9, s0, v4
	v_mul_lo_u32 v10, s26, v4
	v_add_nc_u32_e32 v8, v9, v8
	v_mul_lo_u32 v9, s0, v4
	v_add_nc_u32_e32 v8, v8, v10
	v_mul_hi_u32 v10, v4, v9
	v_mul_lo_u32 v11, v4, v8
	v_mul_hi_u32 v12, v4, v8
	v_mul_hi_u32 v13, v7, v9
	v_mul_lo_u32 v9, v7, v9
	v_mul_hi_u32 v14, v7, v8
	v_mul_lo_u32 v8, v7, v8
	v_add_co_u32 v10, vcc_lo, v10, v11
	v_add_co_ci_u32_e32 v11, vcc_lo, 0, v12, vcc_lo
	v_add_co_u32 v9, vcc_lo, v10, v9
	v_add_co_ci_u32_e32 v9, vcc_lo, v11, v13, vcc_lo
	v_add_co_ci_u32_e32 v10, vcc_lo, 0, v14, vcc_lo
	v_add_co_u32 v8, vcc_lo, v9, v8
	v_add_co_ci_u32_e32 v9, vcc_lo, 0, v10, vcc_lo
	v_add_co_u32 v4, vcc_lo, v4, v8
	v_add_co_ci_u32_e32 v7, vcc_lo, v7, v9, vcc_lo
	v_mul_hi_u32 v8, s0, v4
	v_mul_lo_u32 v10, s26, v4
	v_mul_lo_u32 v9, s0, v7
	v_add_nc_u32_e32 v8, v8, v9
	v_mul_lo_u32 v9, s0, v4
	v_add_nc_u32_e32 v8, v8, v10
	v_mul_hi_u32 v10, v4, v9
	v_mul_lo_u32 v11, v4, v8
	v_mul_hi_u32 v12, v4, v8
	v_mul_hi_u32 v13, v7, v9
	v_mul_lo_u32 v9, v7, v9
	v_mul_hi_u32 v14, v7, v8
	v_mul_lo_u32 v8, v7, v8
	v_add_co_u32 v10, vcc_lo, v10, v11
	v_add_co_ci_u32_e32 v11, vcc_lo, 0, v12, vcc_lo
	v_add_co_u32 v9, vcc_lo, v10, v9
	v_add_co_ci_u32_e32 v9, vcc_lo, v11, v13, vcc_lo
	v_add_co_ci_u32_e32 v10, vcc_lo, 0, v14, vcc_lo
	v_add_co_u32 v8, vcc_lo, v9, v8
	v_add_co_ci_u32_e32 v9, vcc_lo, 0, v10, vcc_lo
	v_add_co_u32 v4, vcc_lo, v4, v8
	v_add_co_ci_u32_e32 v11, vcc_lo, v7, v9, vcc_lo
	v_mul_hi_u32 v13, v5, v4
	v_mad_u64_u32 v[9:10], null, v6, v4, 0
	v_mad_u64_u32 v[7:8], null, v5, v11, 0
	;; [unrolled: 1-line block ×3, first 2 shown]
	v_add_co_u32 v4, vcc_lo, v13, v7
	v_add_co_ci_u32_e32 v7, vcc_lo, 0, v8, vcc_lo
	v_add_co_u32 v4, vcc_lo, v4, v9
	v_add_co_ci_u32_e32 v4, vcc_lo, v7, v10, vcc_lo
	v_add_co_ci_u32_e32 v7, vcc_lo, 0, v12, vcc_lo
	v_add_co_u32 v4, vcc_lo, v4, v11
	v_add_co_ci_u32_e32 v9, vcc_lo, 0, v7, vcc_lo
	v_mul_lo_u32 v10, s25, v4
	v_mad_u64_u32 v[7:8], null, s24, v4, 0
	v_mul_lo_u32 v11, s24, v9
	v_sub_co_u32 v7, vcc_lo, v5, v7
	v_add3_u32 v8, v8, v11, v10
	v_sub_nc_u32_e32 v10, v6, v8
	v_subrev_co_ci_u32_e64 v10, s0, s25, v10, vcc_lo
	v_add_co_u32 v11, s0, v4, 2
	v_add_co_ci_u32_e64 v12, s0, 0, v9, s0
	v_sub_co_u32 v13, s0, v7, s24
	v_sub_co_ci_u32_e32 v8, vcc_lo, v6, v8, vcc_lo
	v_subrev_co_ci_u32_e64 v10, s0, 0, v10, s0
	v_cmp_le_u32_e32 vcc_lo, s24, v13
	v_cmp_eq_u32_e64 s0, s25, v8
	v_cndmask_b32_e64 v13, 0, -1, vcc_lo
	v_cmp_le_u32_e32 vcc_lo, s25, v10
	v_cndmask_b32_e64 v14, 0, -1, vcc_lo
	v_cmp_le_u32_e32 vcc_lo, s24, v7
	;; [unrolled: 2-line block ×3, first 2 shown]
	v_cndmask_b32_e64 v15, 0, -1, vcc_lo
	v_cmp_eq_u32_e32 vcc_lo, s25, v10
	v_cndmask_b32_e64 v7, v15, v7, s0
	v_cndmask_b32_e32 v10, v14, v13, vcc_lo
	v_add_co_u32 v13, vcc_lo, v4, 1
	v_add_co_ci_u32_e32 v14, vcc_lo, 0, v9, vcc_lo
	v_cmp_ne_u32_e32 vcc_lo, 0, v10
	v_cndmask_b32_e32 v8, v14, v12, vcc_lo
	v_cndmask_b32_e32 v10, v13, v11, vcc_lo
	v_cmp_ne_u32_e32 vcc_lo, 0, v7
	v_cndmask_b32_e32 v31, v9, v8, vcc_lo
	v_cndmask_b32_e32 v30, v4, v10, vcc_lo
.LBB0_4:                                ;   in Loop: Header=BB0_2 Depth=1
	s_andn2_saveexec_b32 s0, s1
	s_cbranch_execz .LBB0_6
; %bb.5:                                ;   in Loop: Header=BB0_2 Depth=1
	v_cvt_f32_u32_e32 v4, s24
	s_sub_i32 s1, 0, s24
	v_mov_b32_e32 v31, v3
	v_rcp_iflag_f32_e32 v4, v4
	v_mul_f32_e32 v4, 0x4f7ffffe, v4
	v_cvt_u32_f32_e32 v4, v4
	v_mul_lo_u32 v7, s1, v4
	v_mul_hi_u32 v7, v4, v7
	v_add_nc_u32_e32 v4, v4, v7
	v_mul_hi_u32 v4, v5, v4
	v_mul_lo_u32 v7, v4, s24
	v_add_nc_u32_e32 v8, 1, v4
	v_sub_nc_u32_e32 v7, v5, v7
	v_subrev_nc_u32_e32 v9, s24, v7
	v_cmp_le_u32_e32 vcc_lo, s24, v7
	v_cndmask_b32_e32 v7, v7, v9, vcc_lo
	v_cndmask_b32_e32 v4, v4, v8, vcc_lo
	v_cmp_le_u32_e32 vcc_lo, s24, v7
	v_add_nc_u32_e32 v8, 1, v4
	v_cndmask_b32_e32 v30, v4, v8, vcc_lo
.LBB0_6:                                ;   in Loop: Header=BB0_2 Depth=1
	s_or_b32 exec_lo, exec_lo, s0
	v_mul_lo_u32 v4, v31, s24
	v_mul_lo_u32 v9, v30, s25
	s_load_dwordx2 s[0:1], s[6:7], 0x0
	v_mad_u64_u32 v[7:8], null, v30, s24, 0
	s_load_dwordx2 s[24:25], s[2:3], 0x0
	s_add_u32 s22, s22, 1
	s_addc_u32 s23, s23, 0
	s_add_u32 s2, s2, 8
	s_addc_u32 s3, s3, 0
	s_add_u32 s6, s6, 8
	v_add3_u32 v4, v8, v9, v4
	v_sub_co_u32 v5, vcc_lo, v5, v7
	s_addc_u32 s7, s7, 0
	s_add_u32 s20, s20, 8
	v_sub_co_ci_u32_e32 v4, vcc_lo, v6, v4, vcc_lo
	s_addc_u32 s21, s21, 0
	s_waitcnt lgkmcnt(0)
	v_mul_lo_u32 v6, s0, v4
	v_mul_lo_u32 v7, s1, v5
	v_mad_u64_u32 v[1:2], null, s0, v5, v[1:2]
	v_mul_lo_u32 v4, s24, v4
	v_mul_lo_u32 v8, s25, v5
	v_mad_u64_u32 v[26:27], null, s24, v5, v[26:27]
	v_cmp_ge_u64_e64 s0, s[22:23], s[14:15]
	v_add3_u32 v2, v7, v2, v6
	v_add3_u32 v27, v8, v27, v4
	s_and_b32 vcc_lo, exec_lo, s0
	s_cbranch_vccnz .LBB0_9
; %bb.7:                                ;   in Loop: Header=BB0_2 Depth=1
	v_mov_b32_e32 v5, v30
	v_mov_b32_e32 v6, v31
	s_branch .LBB0_2
.LBB0_8:
	v_mov_b32_e32 v27, v2
	v_mov_b32_e32 v31, v6
	;; [unrolled: 1-line block ×4, first 2 shown]
.LBB0_9:
	s_load_dwordx2 s[0:1], s[4:5], 0x28
	v_mul_hi_u32 v3, 0x4ec4ec5, v0
	s_lshl_b64 s[4:5], s[14:15], 3
                                        ; implicit-def: $vgpr24
                                        ; implicit-def: $vgpr28
                                        ; implicit-def: $vgpr39
                                        ; implicit-def: $vgpr38
                                        ; implicit-def: $vgpr37
                                        ; implicit-def: $vgpr36
                                        ; implicit-def: $vgpr35
                                        ; implicit-def: $vgpr34
                                        ; implicit-def: $vgpr33
                                        ; implicit-def: $vgpr32
	s_add_u32 s2, s18, s4
	s_addc_u32 s3, s19, s5
	s_waitcnt lgkmcnt(0)
	v_cmp_gt_u64_e32 vcc_lo, s[0:1], v[30:31]
	v_cmp_le_u64_e64 s0, s[0:1], v[30:31]
	s_and_saveexec_b32 s1, s0
	s_xor_b32 s0, exec_lo, s1
; %bb.10:
	v_mul_u32_u24_e32 v1, 52, v3
                                        ; implicit-def: $vgpr3
	v_sub_nc_u32_e32 v24, v0, v1
                                        ; implicit-def: $vgpr0
                                        ; implicit-def: $vgpr1_vgpr2
	v_add_nc_u32_e32 v28, 52, v24
	v_add_nc_u32_e32 v39, 0x68, v24
	;; [unrolled: 1-line block ×9, first 2 shown]
; %bb.11:
	s_andn2_saveexec_b32 s1, s0
	s_cbranch_execz .LBB0_13
; %bb.12:
	s_add_u32 s4, s16, s4
	s_addc_u32 s5, s17, s5
	v_lshlrev_b64 v[1:2], 2, v[1:2]
	s_load_dwordx2 s[4:5], s[4:5], 0x0
	s_waitcnt lgkmcnt(0)
	v_mul_lo_u32 v6, s5, v30
	v_mul_lo_u32 v7, s4, v31
	v_mad_u64_u32 v[4:5], null, s4, v30, 0
	v_add3_u32 v5, v5, v7, v6
	v_mul_u32_u24_e32 v6, 52, v3
	v_lshlrev_b64 v[3:4], 2, v[4:5]
	v_sub_nc_u32_e32 v24, v0, v6
	v_lshlrev_b32_e32 v8, 2, v24
	v_add_co_u32 v0, s0, s8, v3
	v_add_co_ci_u32_e64 v3, s0, s9, v4, s0
	v_add_nc_u32_e32 v28, 52, v24
	v_add_co_u32 v4, s0, v0, v1
	v_add_co_ci_u32_e64 v3, s0, v3, v2, s0
	v_or_b32_e32 v2, 0xd00, v8
	v_add_co_u32 v0, s0, v4, v8
	v_add_co_ci_u32_e64 v1, s0, 0, v3, s0
	v_add_co_u32 v2, s0, v4, v2
	v_add_co_ci_u32_e64 v3, s0, 0, v3, s0
	;; [unrolled: 2-line block ×3, first 2 shown]
	v_add_co_u32 v6, s0, 0x1000, v0
	s_clause 0x7
	global_load_dword v9, v[0:1], off
	global_load_dword v10, v[0:1], off offset:208
	global_load_dword v11, v[0:1], off offset:416
	global_load_dword v12, v[0:1], off offset:624
	global_load_dword v13, v[0:1], off offset:832
	global_load_dword v14, v[0:1], off offset:1040
	global_load_dword v15, v[0:1], off offset:1248
	global_load_dword v16, v[0:1], off offset:1456
	v_add_co_ci_u32_e64 v7, s0, 0, v1, s0
	s_clause 0x11
	global_load_dword v17, v[0:1], off offset:1664
	global_load_dword v0, v[0:1], off offset:1872
	;; [unrolled: 1-line block ×14, first 2 shown]
	global_load_dword v2, v[2:3], off
	global_load_dword v3, v[4:5], off offset:1904
	global_load_dword v4, v[6:7], off offset:896
	;; [unrolled: 1-line block ×3, first 2 shown]
	v_add_nc_u32_e32 v6, 0, v8
	v_add_nc_u32_e32 v39, 0x68, v24
	v_add_nc_u32_e32 v38, 0x9c, v24
	v_add_nc_u32_e32 v37, 0xd0, v24
	v_add_nc_u32_e32 v36, 0x104, v24
	v_add_nc_u32_e32 v35, 0x138, v24
	v_add_nc_u32_e32 v34, 0x1a0, v24
	v_add_nc_u32_e32 v33, 0x208, v24
	v_add_nc_u32_e32 v32, 0x270, v24
	v_add_nc_u32_e32 v7, 0x200, v6
	v_add_nc_u32_e32 v8, 0x400, v6
	v_add_nc_u32_e32 v43, 0x800, v6
	v_add_nc_u32_e32 v44, 0xa00, v6
	v_add_nc_u32_e32 v45, 0xc00, v6
	v_add_nc_u32_e32 v46, 0x1000, v6
	v_add_nc_u32_e32 v47, 0x1200, v6
	s_waitcnt vmcnt(24)
	ds_write2_b32 v6, v9, v10 offset1:52
	s_waitcnt vmcnt(22)
	ds_write2_b32 v6, v11, v12 offset0:104 offset1:156
	s_waitcnt vmcnt(20)
	ds_write2_b32 v7, v13, v14 offset0:80 offset1:132
	s_waitcnt vmcnt(18)
	ds_write2_b32 v8, v15, v16 offset0:56 offset1:108
	s_waitcnt vmcnt(16)
	ds_write2_b32 v8, v17, v0 offset0:160 offset1:212
	s_waitcnt vmcnt(14)
	ds_write2_b32 v43, v1, v18 offset0:8 offset1:60
	s_waitcnt vmcnt(12)
	ds_write2_b32 v43, v19, v20 offset0:112 offset1:164
	s_waitcnt vmcnt(10)
	ds_write2_b32 v44, v21, v22 offset0:88 offset1:140
	s_waitcnt vmcnt(3)
	ds_write2_b32 v45, v2, v23 offset0:64 offset1:116
	s_waitcnt vmcnt(2)
	ds_write2_b32 v45, v25, v3 offset0:168 offset1:220
	ds_write2_b32 v46, v29, v40 offset0:16 offset1:68
	ds_write2_b32 v46, v41, v42 offset0:120 offset1:172
	s_waitcnt vmcnt(0)
	ds_write2_b32 v47, v4, v5 offset0:96 offset1:148
.LBB0_13:
	s_or_b32 exec_lo, exec_lo, s1
	v_lshlrev_b32_e32 v25, 2, v24
	s_load_dwordx2 s[2:3], s[2:3], 0x0
	s_waitcnt lgkmcnt(0)
	s_barrier
	buffer_gl0_inv
	v_add_nc_u32_e32 v42, 0, v25
	v_lshl_add_u32 v43, v28, 3, 0
	v_lshl_add_u32 v46, v39, 3, 0
	v_lshl_add_u32 v47, v38, 3, 0
	v_lshl_add_u32 v29, v37, 3, 0
	v_add_nc_u32_e32 v50, 0x800, v42
	v_add_nc_u32_e32 v4, 0xa00, v42
	;; [unrolled: 1-line block ×4, first 2 shown]
	ds_read2_b32 v[0:1], v42 offset1:52
	ds_read2_b32 v[2:3], v50 offset0:112 offset1:164
	ds_read2_b32 v[4:5], v4 offset0:88 offset1:140
	v_add_nc_u32_e32 v52, 0x1000, v42
	v_add_nc_u32_e32 v22, 0x200, v42
	ds_read2_b32 v[6:7], v6 offset0:96 offset1:148
	v_add_nc_u32_e32 v53, 0xc00, v42
	ds_read2_b32 v[8:9], v42 offset0:104 offset1:156
	ds_read2_b32 v[10:11], v54 offset0:56 offset1:108
	;; [unrolled: 1-line block ×9, first 2 shown]
	v_add_nc_u32_e32 v49, v42, v25
	s_waitcnt lgkmcnt(0)
	s_barrier
	buffer_gl0_inv
	v_lshl_add_u32 v45, v34, 3, 0
	v_lshl_add_u32 v48, v36, 3, 0
	v_add_nc_u32_e32 v56, 0xea0, v49
	v_lshl_add_u32 v51, v35, 3, 0
	v_lshl_add_u32 v44, v33, 3, 0
	v_add_nc_u32_e32 v55, 0xb60, v49
	v_add_nc_u32_e32 v61, 0xe00, v42
	v_lshlrev_b32_e32 v57, 2, v37
	v_lshlrev_b32_e32 v58, 2, v35
	v_pk_add_f16 v3, v0, v3 neg_lo:[0,1] neg_hi:[0,1]
	v_pk_add_f16 v4, v1, v4 neg_lo:[0,1] neg_hi:[0,1]
	;; [unrolled: 1-line block ×3, first 2 shown]
	v_sub_nc_u32_e32 v60, v29, v57
	v_pk_add_f16 v7, v2, v7 neg_lo:[0,1] neg_hi:[0,1]
	v_pk_fma_f16 v0, v0, 2.0, v3 op_sel_hi:[1,0,1] neg_lo:[0,0,1] neg_hi:[0,0,1]
	v_pk_fma_f16 v1, v1, 2.0, v4 op_sel_hi:[1,0,1] neg_lo:[0,0,1] neg_hi:[0,0,1]
	;; [unrolled: 1-line block ×3, first 2 shown]
	v_sub_nc_u32_e32 v67, v51, v58
	v_add_nc_u32_e32 v63, 0x600, v42
	ds_write2_b32 v49, v0, v3 offset1:1
	ds_write2_b32 v43, v1, v4 offset1:1
	v_pk_fma_f16 v0, v2, 2.0, v7 op_sel_hi:[1,0,1] neg_lo:[0,0,1] neg_hi:[0,0,1]
	v_pk_add_f16 v2, v17, v6 neg_lo:[0,1] neg_hi:[0,1]
	v_pk_add_f16 v6, v14, v13 neg_lo:[0,1] neg_hi:[0,1]
	;; [unrolled: 1-line block ×8, first 2 shown]
	v_pk_fma_f16 v9, v9, 2.0, v12 op_sel_hi:[1,0,1] neg_lo:[0,0,1] neg_hi:[0,0,1]
	ds_write2_b32 v46, v8, v5 offset1:1
	ds_write2_b32 v47, v9, v12 offset1:1
	v_and_b32_e32 v12, 1, v24
	v_pk_add_f16 v18, v10, v21 neg_lo:[0,1] neg_hi:[0,1]
	v_pk_fma_f16 v14, v14, 2.0, v6 op_sel_hi:[1,0,1] neg_lo:[0,0,1] neg_hi:[0,0,1]
	v_lshl_add_u32 v43, v32, 3, 0
	v_pk_fma_f16 v21, v22, 2.0, v20 op_sel_hi:[1,0,1] neg_lo:[0,0,1] neg_hi:[0,0,1]
	v_mul_u32_u24_e32 v5, 12, v12
	v_pk_fma_f16 v15, v15, 2.0, v4 op_sel_hi:[1,0,1] neg_lo:[0,0,1] neg_hi:[0,0,1]
	v_pk_fma_f16 v22, v23, 2.0, v19 op_sel_hi:[1,0,1] neg_lo:[0,0,1] neg_hi:[0,0,1]
	v_pk_fma_f16 v16, v16, 2.0, v3 op_sel_hi:[1,0,1] neg_lo:[0,0,1] neg_hi:[0,0,1]
	v_pk_fma_f16 v10, v10, 2.0, v18 op_sel_hi:[1,0,1] neg_lo:[0,0,1] neg_hi:[0,0,1]
	v_lshlrev_b32_e32 v8, 2, v5
	v_add_nc_u32_e32 v1, 0x11e0, v49
	v_pk_fma_f16 v17, v17, 2.0, v2 op_sel_hi:[1,0,1] neg_lo:[0,0,1] neg_hi:[0,0,1]
	v_pk_fma_f16 v11, v11, 2.0, v13 op_sel_hi:[1,0,1] neg_lo:[0,0,1] neg_hi:[0,0,1]
	ds_write2_b32 v29, v21, v20 offset1:1
	ds_write2_b32 v48, v22, v19 offset1:1
	;; [unrolled: 1-line block ×9, first 2 shown]
	s_waitcnt lgkmcnt(0)
	s_barrier
	buffer_gl0_inv
	s_clause 0x2
	global_load_dwordx4 v[0:3], v8, s[12:13] offset:32
	global_load_dwordx4 v[4:7], v8, s[12:13] offset:16
	global_load_dwordx4 v[8:11], v8, s[12:13]
	v_lshlrev_b32_e32 v47, 2, v33
	v_lshlrev_b32_e32 v48, 2, v32
	;; [unrolled: 1-line block ×4, first 2 shown]
	ds_read2_b32 v[69:70], v61 offset0:92 offset1:144
	ds_read2_b32 v[71:72], v52 offset0:68 offset1:120
	;; [unrolled: 1-line block ×3, first 2 shown]
	v_sub_nc_u32_e32 v65, v44, v47
	v_lshl_add_u32 v55, v28, 2, 0
	v_sub_nc_u32_e32 v66, v43, v48
	v_sub_nc_u32_e32 v59, v46, v56
	;; [unrolled: 1-line block ×3, first 2 shown]
	ds_read2_b32 v[75:76], v53 offset0:116 offset1:168
	ds_read_b32 v85, v42 offset:5200
	ds_read2_b32 v[77:78], v50 offset0:164 offset1:216
	ds_read2_b32 v[79:80], v53 offset0:12 offset1:64
	ds_read_b32 v86, v65
	ds_read_b32 v87, v66
	ds_read2_b32 v[81:82], v63 offset0:84 offset1:188
	ds_read2_b32 v[83:84], v54 offset0:4 offset1:108
	ds_read_b32 v90, v60
	ds_read_b32 v91, v67
	;; [unrolled: 1-line block ×5, first 2 shown]
	ds_read2_b32 v[88:89], v42 offset1:156
	s_waitcnt vmcnt(0) lgkmcnt(0)
	s_barrier
	buffer_gl0_inv
	v_cmp_gt_u32_e64 s0, 26, v24
	v_lshrrev_b32_e32 v97, 16, v76
	v_lshrrev_b32_e32 v98, 16, v85
	;; [unrolled: 1-line block ×24, first 2 shown]
	v_mul_f16_sdwa v19, v95, v1 dst_sel:DWORD dst_unused:UNUSED_PAD src0_sel:DWORD src1_sel:WORD_1
	v_mul_f16_sdwa v122, v74, v3 dst_sel:DWORD dst_unused:UNUSED_PAD src0_sel:DWORD src1_sel:WORD_1
	v_mul_f16_sdwa v142, v8, v110 dst_sel:DWORD dst_unused:UNUSED_PAD src0_sel:WORD_1 src1_sel:DWORD
	v_mul_f16_sdwa v143, v8, v93 dst_sel:DWORD dst_unused:UNUSED_PAD src0_sel:WORD_1 src1_sel:DWORD
	v_mul_f16_sdwa v16, v94, v0 dst_sel:DWORD dst_unused:UNUSED_PAD src0_sel:DWORD src1_sel:WORD_1
	v_mul_f16_sdwa v119, v64, v3 dst_sel:DWORD dst_unused:UNUSED_PAD src0_sel:DWORD src1_sel:WORD_1
	;; [unrolled: 1-line block ×7, first 2 shown]
	v_mul_f16_sdwa v144, v9, v111 dst_sel:DWORD dst_unused:UNUSED_PAD src0_sel:WORD_1 src1_sel:DWORD
	v_mul_f16_sdwa v145, v9, v90 dst_sel:DWORD dst_unused:UNUSED_PAD src0_sel:WORD_1 src1_sel:DWORD
	v_fmac_f16_e32 v19, v71, v1
	v_fma_f16 v122, v64, v3, -v122
	v_fmac_f16_e32 v142, v8, v93
	v_fma_f16 v71, v8, v110, -v143
	v_mul_f16_sdwa v115, v41, v1 dst_sel:DWORD dst_unused:UNUSED_PAD src0_sel:DWORD src1_sel:WORD_1
	v_mul_f16_sdwa v116, v70, v1 dst_sel:DWORD dst_unused:UNUSED_PAD src0_sel:DWORD src1_sel:WORD_1
	;; [unrolled: 1-line block ×25, first 2 shown]
	v_fmac_f16_e32 v16, v69, v0
	v_mul_f16_sdwa v69, v114, v8 dst_sel:DWORD dst_unused:UNUSED_PAD src0_sel:DWORD src1_sel:WORD_1
	v_fmac_f16_e32 v119, v74, v3
	v_fmac_f16_e32 v127, v78, v6
	;; [unrolled: 1-line block ×6, first 2 shown]
	v_fma_f16 v77, v9, v111, -v145
	v_sub_f16_e32 v78, v71, v122
	v_add_f16_e32 v79, v142, v88
	v_add_f16_sdwa v80, v71, v88 dst_sel:DWORD dst_unused:UNUSED_PAD src0_sel:DWORD src1_sel:WORD_1
	v_mul_f16_sdwa v23, v98, v3 dst_sel:DWORD dst_unused:UNUSED_PAD src0_sel:DWORD src1_sel:WORD_1
	v_mul_f16_sdwa v126, v85, v3 dst_sel:DWORD dst_unused:UNUSED_PAD src0_sel:DWORD src1_sel:WORD_1
	;; [unrolled: 1-line block ×8, first 2 shown]
	v_fmac_f16_e32 v115, v70, v1
	v_mul_f16_sdwa v70, v89, v8 dst_sel:DWORD dst_unused:UNUSED_PAD src0_sel:DWORD src1_sel:WORD_1
	v_fmac_f16_e32 v117, v72, v2
	v_fmac_f16_e32 v20, v73, v2
	v_fma_f16 v116, v41, v1, -v116
	v_fma_f16 v118, v62, v2, -v118
	;; [unrolled: 1-line block ×6, first 2 shown]
	v_fmac_f16_e32 v125, v76, v0
	v_fmac_f16_e32 v134, v86, v4
	v_fma_f16 v94, v104, v4, -v135
	v_fmac_f16_e32 v136, v87, v5
	v_fma_f16 v95, v105, v5, -v137
	v_fma_f16 v96, v99, v6, -v128
	;; [unrolled: 1-line block ×5, first 2 shown]
	v_fmac_f16_e32 v18, v82, v4
	v_fmac_f16_e32 v22, v84, v10
	;; [unrolled: 1-line block ×3, first 2 shown]
	v_fma_f16 v84, v112, v10, -v147
	v_fma_f16 v90, v113, v11, -v149
	;; [unrolled: 1-line block ×4, first 2 shown]
	v_fmac_f16_e32 v69, v89, v8
	v_add_f16_e32 v89, v142, v119
	v_add_f16_e32 v91, v71, v122
	v_mul_f16_e32 v108, 0xb770, v78
	v_mul_f16_e32 v109, 0xba95, v78
	;; [unrolled: 1-line block ×6, first 2 shown]
	v_add_f16_e32 v120, v80, v77
	v_add_f16_e32 v121, v79, v144
	v_fmac_f16_e32 v23, v85, v3
	v_fma_f16 v1, v98, v3, -v126
	v_fmac_f16_e32 v17, v75, v7
	v_fma_f16 v98, v101, v7, -v131
	v_fma_f16 v3, v103, v7, -v133
	v_fmac_f16_e32 v40, v83, v9
	v_fmac_f16_e32 v148, v92, v11
	v_fma_f16 v7, v107, v9, -v139
	v_fma_f16 v9, v114, v8, -v70
	v_sub_f16_e32 v92, v142, v119
	v_sub_f16_e32 v93, v77, v118
	v_add_f16_e32 v99, v77, v118
	v_sub_f16_e32 v100, v84, v116
	v_add_f16_e32 v101, v84, v116
	v_mul_f16_e32 v114, 0x3b15, v91
	v_mul_f16_e32 v123, 0x388b, v91
	v_fmamk_f16 v138, v89, 0x3b15, v108
	v_fma_f16 v108, v89, 0x3b15, -v108
	v_fmamk_f16 v139, v89, 0x388b, v109
	v_fma_f16 v109, v89, 0x388b, -v109
	;; [unrolled: 2-line block ×6, first 2 shown]
	v_add_f16_e32 v113, v121, v146
	v_add_f16_e32 v84, v120, v84
	;; [unrolled: 1-line block ×3, first 2 shown]
	v_sub_f16_e32 v75, v144, v117
	v_mul_f16_e32 v87, 0xba95, v93
	v_mul_f16_e32 v85, 0x388b, v99
	;; [unrolled: 1-line block ×3, first 2 shown]
	v_fmamk_f16 v121, v92, 0x3770, v114
	v_fmamk_f16 v120, v92, 0x3a95, v123
	v_add_f16_e32 v113, v113, v148
	v_add_f16_e32 v84, v84, v90
	v_fmac_f16_e32 v21, v81, v11
	v_add_f16_e32 v72, v146, v115
	v_add_f16_e32 v71, v148, v125
	v_sub_f16_e32 v70, v148, v125
	v_add_f16_e32 v11, v134, v130
	v_sub_f16_e32 v76, v134, v130
	v_mul_f16_e32 v86, 0xbbf1, v100
	v_mul_f16_e32 v124, 0x2fb7, v91
	;; [unrolled: 1-line block ×6, first 2 shown]
	v_add_f16_e32 v138, v138, v88
	v_add_f16_sdwa v121, v121, v88 dst_sel:DWORD dst_unused:UNUSED_PAD src0_sel:DWORD src1_sel:WORD_1
	v_add_f16_sdwa v120, v120, v88 dst_sel:DWORD dst_unused:UNUSED_PAD src0_sel:DWORD src1_sel:WORD_1
	v_fmamk_f16 v149, v74, 0x388b, v87
	v_fmamk_f16 v148, v75, 0x3a95, v85
	v_add_f16_e32 v113, v113, v134
	v_fmamk_f16 v134, v75, 0x3b7b, v131
	v_add_f16_e32 v84, v84, v94
	v_sub_f16_e32 v73, v146, v115
	v_sub_f16_e32 v104, v90, v97
	v_add_f16_e32 v105, v90, v97
	v_mul_f16_e32 v82, 0x2fb7, v101
	v_mul_f16_e32 v133, 0xbbc4, v99
	;; [unrolled: 1-line block ×3, first 2 shown]
	v_fmac_f16_e32 v114, 0xb770, v92
	v_fmac_f16_e32 v123, 0xba95, v92
	v_fmamk_f16 v144, v92, 0x3bf1, v124
	v_fmac_f16_e32 v124, 0xbbf1, v92
	v_fmamk_f16 v145, v92, 0x3b7b, v126
	;; [unrolled: 2-line block ×4, first 2 shown]
	v_fmac_f16_e32 v91, 0xb3a8, v92
	v_add_f16_e32 v139, v139, v88
	v_add_f16_e32 v138, v149, v138
	;; [unrolled: 1-line block ×3, first 2 shown]
	v_fmamk_f16 v148, v74, 0xb5ac, v129
	v_add_f16_e32 v120, v134, v120
	v_fmamk_f16 v134, v72, 0x2fb7, v86
	v_add_f16_e32 v113, v113, v136
	v_add_f16_e32 v84, v84, v95
	;; [unrolled: 1-line block ×3, first 2 shown]
	v_sub_f16_e32 v10, v136, v127
	v_add_f16_e32 v107, v94, v98
	v_mul_f16_e32 v78, 0xb5ac, v105
	v_mul_f16_e32 v132, 0xb3a8, v93
	;; [unrolled: 1-line block ×3, first 2 shown]
	v_add_f16_e32 v108, v108, v88
	v_add_f16_sdwa v114, v114, v88 dst_sel:DWORD dst_unused:UNUSED_PAD src0_sel:DWORD src1_sel:WORD_1
	v_add_f16_e32 v109, v109, v88
	v_add_f16_sdwa v123, v123, v88 dst_sel:DWORD dst_unused:UNUSED_PAD src0_sel:DWORD src1_sel:WORD_1
	;; [unrolled: 2-line block ×10, first 2 shown]
	v_mul_f16_e32 v91, 0xb5ac, v101
	v_mul_f16_e32 v90, 0x394e, v104
	v_add_f16_e32 v139, v148, v139
	v_fmamk_f16 v148, v75, 0x33a8, v133
	v_add_f16_e32 v134, v134, v138
	v_fmamk_f16 v138, v73, 0x3bf1, v82
	v_fmamk_f16 v136, v72, 0xbbc4, v135
	v_add_f16_e32 v113, v113, v127
	v_add_f16_e32 v84, v84, v96
	;; [unrolled: 1-line block ×3, first 2 shown]
	v_sub_f16_e32 v103, v95, v96
	v_sub_f16_e32 v106, v94, v98
	v_mul_f16_e32 v83, 0xbb7b, v104
	v_mul_f16_e32 v79, 0xb9fd, v107
	;; [unrolled: 1-line block ×3, first 2 shown]
	v_fmamk_f16 v94, v74, 0xbbc4, v132
	v_add_f16_e32 v144, v148, v144
	v_mul_f16_e32 v148, 0x3b15, v105
	v_fmamk_f16 v95, v73, 0x33a8, v137
	v_add_f16_e32 v121, v138, v121
	v_add_f16_e32 v136, v136, v139
	v_fmamk_f16 v139, v73, 0xbb7b, v91
	v_fmamk_f16 v127, v70, 0x3b7b, v78
	;; [unrolled: 1-line block ×3, first 2 shown]
	v_add_f16_e32 v113, v113, v130
	v_add_f16_e32 v84, v84, v98
	v_mul_f16_e32 v81, 0xb94e, v106
	v_mul_f16_e32 v149, 0xb9fd, v105
	v_add_f16_e32 v94, v94, v140
	v_mul_f16_e32 v140, 0x3770, v104
	v_fmamk_f16 v138, v72, 0xb5ac, v92
	v_add_f16_e32 v95, v95, v120
	v_mul_f16_e32 v120, 0x3bf1, v106
	v_add_f16_e32 v139, v139, v144
	v_fmamk_f16 v144, v71, 0xb5ac, v83
	v_add_f16_e32 v121, v127, v121
	v_add_f16_e32 v96, v96, v136
	v_fmamk_f16 v136, v70, 0xb770, v148
	v_fmamk_f16 v130, v76, 0x394e, v79
	v_add_f16_e32 v113, v113, v125
	v_add_f16_e32 v84, v84, v97
	v_mul_f16_e32 v80, 0xb3a8, v103
	v_add_f16_e32 v94, v138, v94
	v_add_f16_e32 v134, v144, v134
	v_fmamk_f16 v144, v70, 0xb94e, v149
	v_fmamk_f16 v127, v71, 0x3b15, v140
	v_add_f16_e32 v136, v136, v139
	v_fmamk_f16 v139, v11, 0xb9fd, v81
	v_add_f16_e32 v121, v130, v121
	;; [unrolled: 2-line block ×3, first 2 shown]
	v_add_f16_e32 v84, v84, v116
	v_mul_f16_e32 v77, 0xbbc4, v102
	v_mul_f16_e32 v138, 0x2fb7, v107
	v_add_f16_e32 v95, v144, v95
	v_mul_f16_e32 v144, 0xba95, v106
	v_add_f16_e32 v94, v127, v94
	;; [unrolled: 2-line block ×3, first 2 shown]
	v_add_f16_e32 v96, v130, v96
	v_fmamk_f16 v130, v8, 0xbbc4, v80
	v_add_f16_e32 v113, v113, v117
	v_add_f16_e32 v84, v84, v118
	v_mul_f16_e32 v98, 0x3770, v103
	v_mul_f16_e32 v139, 0x3b15, v102
	;; [unrolled: 1-line block ×4, first 2 shown]
	v_fmamk_f16 v115, v10, 0x33a8, v77
	v_fmamk_f16 v116, v76, 0xbbf1, v138
	v_add_f16_e32 v130, v130, v134
	v_fmamk_f16 v134, v11, 0x388b, v144
	v_fmamk_f16 v117, v76, 0x3a95, v127
	v_add_f16_e32 v113, v113, v119
	v_add_f16_e32 v84, v84, v122
	v_fmamk_f16 v118, v8, 0x3b15, v98
	v_add_f16_e32 v115, v115, v121
	v_fmamk_f16 v121, v10, 0xb770, v139
	v_add_f16_e32 v95, v116, v95
	v_add_f16_e32 v94, v134, v94
	;; [unrolled: 1-line block ×3, first 2 shown]
	v_pack_b32_f16 v113, v113, v84
	v_fmamk_f16 v84, v8, 0xb9fd, v125
	v_fmamk_f16 v117, v10, 0x394e, v97
	v_mul_f16_e32 v119, 0x394e, v93
	v_add_f16_e32 v96, v118, v96
	v_add_f16_e32 v95, v121, v95
	;; [unrolled: 1-line block ×4, first 2 shown]
	v_fmamk_f16 v116, v74, 0xb9fd, v119
	v_mul_f16_e32 v117, 0xb9fd, v99
	v_mul_f16_e32 v118, 0x3bf1, v93
	v_pack_b32_f16 v115, v130, v115
	v_pack_b32_f16 v95, v96, v95
	;; [unrolled: 1-line block ×3, first 2 shown]
	v_add_f16_e32 v84, v116, v141
	v_fmamk_f16 v96, v75, 0xb94e, v117
	v_fmamk_f16 v116, v74, 0x2fb7, v118
	v_mul_f16_e32 v121, 0x2fb7, v99
	v_mul_f16_e32 v122, 0x3770, v100
	;; [unrolled: 1-line block ×3, first 2 shown]
	v_add_f16_e32 v96, v96, v145
	v_add_f16_e32 v116, v116, v142
	v_fmamk_f16 v134, v75, 0xbbf1, v121
	v_fmamk_f16 v136, v72, 0x3b15, v122
	;; [unrolled: 1-line block ×3, first 2 shown]
	v_mul_f16_e32 v142, 0xba95, v100
	v_mul_f16_e32 v145, 0x388b, v101
	v_add_f16_e32 v134, v134, v146
	v_add_f16_e32 v84, v136, v84
	;; [unrolled: 1-line block ×3, first 2 shown]
	v_fmamk_f16 v136, v72, 0x388b, v142
	v_fmamk_f16 v141, v73, 0x3a95, v145
	v_mul_f16_e32 v146, 0xbbf1, v104
	v_mul_f16_e32 v157, 0x388b, v102
	;; [unrolled: 1-line block ×3, first 2 shown]
	v_add_f16_e32 v116, v136, v116
	v_add_f16_e32 v134, v141, v134
	v_fmamk_f16 v136, v71, 0x2fb7, v146
	v_mul_f16_e32 v141, 0x2fb7, v105
	v_mul_f16_e32 v159, 0xb5ac, v102
	;; [unrolled: 1-line block ×3, first 2 shown]
	v_fmac_f16_e32 v121, 0x3bf1, v75
	v_add_f16_e32 v84, v136, v84
	v_fmamk_f16 v136, v70, 0x3bf1, v141
	v_fmac_f16_e32 v145, 0xba95, v73
	v_fmac_f16_e32 v117, 0x394e, v75
	;; [unrolled: 1-line block ×4, first 2 shown]
	v_add_f16_e32 v96, v136, v96
	v_mul_f16_e32 v136, 0x33a8, v104
	v_fma_f16 v92, v72, 0xb5ac, -v92
	v_fma_f16 v90, v71, 0xb9fd, -v90
	v_fmac_f16_e32 v85, 0xba95, v75
	v_fmac_f16_e32 v82, 0xbbf1, v73
	v_fmamk_f16 v150, v71, 0xbbc4, v136
	v_fmac_f16_e32 v133, 0xb3a8, v75
	v_fmac_f16_e32 v131, 0xbb7b, v75
	v_add_f16_e32 v85, v85, v114
	v_fmac_f16_e32 v91, 0x3b7b, v73
	v_add_f16_e32 v116, v150, v116
	v_mul_f16_e32 v150, 0xbbc4, v105
	v_fmac_f16_e32 v149, 0x394e, v70
	v_fmac_f16_e32 v148, 0x3770, v70
	;; [unrolled: 1-line block ×4, first 2 shown]
	v_fmamk_f16 v151, v70, 0xb3a8, v150
	v_fmac_f16_e32 v150, 0x33a8, v70
	v_fmac_f16_e32 v79, 0xb94e, v76
	;; [unrolled: 1-line block ×4, first 2 shown]
	v_add_f16_e32 v134, v151, v134
	v_mul_f16_e32 v151, 0x33a8, v106
	v_fmac_f16_e32 v138, 0x3bf1, v76
	v_fmac_f16_e32 v97, 0xb94e, v10
	;; [unrolled: 1-line block ×3, first 2 shown]
	v_fmamk_f16 v152, v11, 0xbbc4, v151
	v_add_f16_e32 v84, v152, v84
	v_mul_f16_e32 v152, 0xbbc4, v107
	v_fmamk_f16 v153, v76, 0xb3a8, v152
	v_fmac_f16_e32 v152, 0x33a8, v76
	v_add_f16_e32 v96, v153, v96
	v_mul_f16_e32 v153, 0x3770, v106
	v_fmamk_f16 v154, v11, 0x3b15, v153
	v_add_f16_e32 v116, v154, v116
	v_mul_f16_e32 v154, 0x3b15, v107
	v_fmamk_f16 v155, v76, 0xb770, v154
	v_fmac_f16_e32 v154, 0x3770, v76
	v_add_f16_e32 v134, v155, v134
	v_mul_f16_e32 v155, 0x3a95, v103
	v_fmamk_f16 v156, v8, 0x388b, v155
	v_add_f16_e32 v156, v156, v84
	v_fmamk_f16 v84, v10, 0xba95, v157
	v_fmac_f16_e32 v157, 0x3a95, v10
	v_add_f16_e32 v96, v84, v96
	v_fmamk_f16 v84, v8, 0xb5ac, v158
	v_pack_b32_f16 v96, v156, v96
	v_add_f16_e32 v116, v84, v116
	v_fmamk_f16 v84, v10, 0x3b7b, v159
	v_fmac_f16_e32 v159, 0xbb7b, v10
	v_add_f16_e32 v134, v84, v134
	v_mul_f16_e32 v84, 0x3770, v93
	v_fmamk_f16 v93, v74, 0x3b15, v84
	v_fma_f16 v84, v74, 0x3b15, -v84
	v_add_f16_e32 v93, v93, v143
	v_fmamk_f16 v143, v75, 0xb770, v99
	v_add_f16_e32 v84, v84, v89
	v_fmac_f16_e32 v99, 0x3770, v75
	v_mul_f16_e32 v89, 0xb94e, v100
	v_add_f16_e32 v143, v143, v147
	v_add_f16_e32 v88, v99, v88
	v_fmamk_f16 v99, v72, 0xb9fd, v89
	v_fma_f16 v89, v72, 0xb9fd, -v89
	v_add_f16_e32 v93, v99, v93
	v_mul_f16_e32 v99, 0xb9fd, v101
	v_add_f16_e32 v84, v89, v84
	v_mul_f16_e32 v89, 0x3a95, v104
	v_fmamk_f16 v100, v73, 0x394e, v99
	v_fmac_f16_e32 v99, 0xb94e, v73
	v_add_f16_e32 v100, v100, v143
	v_add_f16_e32 v88, v99, v88
	v_fmamk_f16 v99, v71, 0x388b, v89
	v_fma_f16 v89, v71, 0x388b, -v89
	v_add_f16_e32 v93, v99, v93
	v_mul_f16_e32 v99, 0x388b, v105
	v_add_f16_e32 v84, v89, v84
	v_mul_f16_e32 v89, 0xbb7b, v106
	v_fmamk_f16 v101, v70, 0xba95, v99
	v_fmac_f16_e32 v99, 0x3a95, v70
	;; [unrolled: 10-line block ×3, first 2 shown]
	v_add_f16_e32 v100, v101, v100
	v_add_f16_e32 v88, v99, v88
	v_fmamk_f16 v99, v8, 0x2fb7, v89
	v_fma_f16 v89, v8, 0x2fb7, -v89
	v_add_f16_e32 v93, v99, v93
	v_add_f16_e32 v89, v89, v84
	v_lshrrev_b32_e32 v84, 1, v24
	v_mul_f16_e32 v99, 0x2fb7, v102
	v_mul_u32_u24_e32 v84, 26, v84
	v_fmamk_f16 v101, v10, 0xbbf1, v99
	v_fmac_f16_e32 v99, 0x3bf1, v10
	v_or_b32_e32 v84, v84, v12
	v_add_f16_e32 v100, v101, v100
	v_add_f16_e32 v88, v99, v88
	v_pack_b32_f16 v99, v116, v134
	v_add_f16_e32 v101, v133, v124
	v_lshl_add_u32 v84, v84, 2, 0
	v_pack_b32_f16 v93, v93, v100
	v_pack_b32_f16 v88, v89, v88
	ds_write2_b32 v84, v113, v115 offset1:2
	ds_write2_b32 v84, v95, v94 offset0:4 offset1:6
	v_fma_f16 v89, v74, 0xb9fd, -v119
	ds_write2_b32 v84, v96, v99 offset0:8 offset1:10
	ds_write2_b32 v84, v93, v88 offset0:12 offset1:14
	v_fma_f16 v88, v74, 0x2fb7, -v118
	v_fma_f16 v93, v72, 0x3b15, -v122
	;; [unrolled: 1-line block ×3, first 2 shown]
	v_add_f16_e32 v89, v89, v111
	v_add_f16_e32 v96, v121, v128
	;; [unrolled: 1-line block ×4, first 2 shown]
	v_fma_f16 v99, v74, 0xb5ac, -v129
	v_add_f16_e32 v89, v93, v89
	v_fma_f16 v93, v71, 0x2fb7, -v146
	v_add_f16_e32 v88, v95, v88
	;; [unrolled: 2-line block ×3, first 2 shown]
	v_add_f16_e32 v94, v130, v94
	v_add_f16_e32 v89, v93, v89
	v_fma_f16 v93, v11, 0xbbc4, -v151
	v_add_f16_e32 v88, v95, v88
	v_add_f16_e32 v95, v150, v96
	v_fma_f16 v96, v11, 0x3b15, -v153
	v_add_f16_e32 v94, v141, v94
	v_add_f16_e32 v89, v93, v89
	;; [unrolled: 1-line block ×5, first 2 shown]
	v_fma_f16 v95, v8, 0x388b, -v155
	v_fma_f16 v96, v8, 0xb5ac, -v158
	v_add_f16_e32 v94, v152, v94
	v_add_f16_e32 v93, v159, v93
	;; [unrolled: 1-line block ×6, first 2 shown]
	v_fma_f16 v96, v74, 0xbbc4, -v132
	v_fma_f16 v99, v72, 0xbbc4, -v135
	v_add_f16_e32 v94, v157, v94
	v_fma_f16 v74, v74, 0x388b, -v87
	v_fma_f16 v72, v72, 0x2fb7, -v86
	v_add_f16_e32 v96, v96, v110
	v_add_f16_e32 v95, v99, v95
	v_pack_b32_f16 v89, v89, v94
	v_fma_f16 v94, v11, 0x388b, -v144
	v_add_f16_e32 v74, v74, v108
	v_add_f16_e32 v92, v92, v96
	;; [unrolled: 1-line block ×3, first 2 shown]
	v_fma_f16 v95, v71, 0x3b15, -v140
	v_fma_f16 v71, v71, 0xb5ac, -v83
	v_add_f16_e32 v72, v72, v74
	v_add_f16_e32 v74, v82, v85
	v_fma_f16 v96, v11, 0x2fb7, -v120
	v_add_f16_e32 v92, v95, v92
	v_add_f16_e32 v95, v69, v13
	;; [unrolled: 1-line block ×4, first 2 shown]
	v_fma_f16 v11, v11, 0xb9fd, -v81
	v_add_f16_e32 v92, v94, v92
	v_add_f16_e32 v94, v95, v40
	v_pack_b32_f16 v88, v88, v93
	v_add_f16_e32 v93, v137, v100
	v_add_f16_e32 v91, v148, v91
	;; [unrolled: 1-line block ×4, first 2 shown]
	v_fma_f16 v96, v8, 0x3b15, -v98
	v_fma_f16 v95, v8, 0xb9fd, -v125
	v_add_f16_e32 v11, v11, v70
	v_add_f16_e32 v70, v79, v74
	;; [unrolled: 1-line block ×3, first 2 shown]
	v_fma_f16 v8, v8, 0xbbc4, -v80
	v_add_f16_e32 v93, v149, v93
	v_add_f16_e32 v91, v127, v91
	;; [unrolled: 1-line block ×4, first 2 shown]
	v_add_f16_sdwa v87, v9, v13 dst_sel:DWORD dst_unused:UNUSED_PAD src0_sel:DWORD src1_sel:WORD_1
	v_add_f16_e32 v8, v8, v11
	v_add_f16_e32 v11, v77, v70
	;; [unrolled: 1-line block ×6, first 2 shown]
	v_pack_b32_f16 v8, v8, v11
	v_sub_f16_e32 v11, v9, v1
	v_add_f16_e32 v71, v82, v15
	v_add_f16_e32 v72, v83, v6
	v_add_f16_e32 v90, v96, v90
	v_add_f16_e32 v76, v139, v93
	v_pack_b32_f16 v10, v75, v73
	v_add_f16_e32 v71, v71, v17
	v_add_f16_e32 v72, v72, v4
	;; [unrolled: 1-line block ×4, first 2 shown]
	v_sub_f16_e32 v74, v7, v41
	v_add_f16_e32 v71, v71, v16
	v_add_f16_e32 v72, v72, v5
	v_pack_b32_f16 v70, v90, v76
	v_add_f16_e32 v75, v40, v20
	v_mul_f16_e32 v77, 0x3b15, v9
	v_add_f16_e32 v71, v71, v19
	v_add_f16_e32 v72, v72, v0
	;; [unrolled: 1-line block ×3, first 2 shown]
	v_mul_f16_e32 v78, 0xba95, v74
	v_sub_f16_e32 v81, v6, v64
	v_add_f16_e32 v71, v71, v20
	v_add_f16_e32 v72, v72, v2
	v_sub_f16_e32 v20, v40, v20
	v_mul_f16_e32 v79, 0x388b, v7
	v_fmamk_f16 v80, v75, 0x388b, v78
	v_add_f16_e32 v71, v71, v23
	v_sub_f16_e32 v23, v69, v23
	v_mul_f16_e32 v69, 0xb770, v11
	v_add_f16_e32 v72, v72, v3
	v_fmamk_f16 v82, v20, 0x3a95, v79
	v_mul_f16_e32 v83, 0xbbf1, v81
	v_add_f16_e32 v6, v6, v64
	v_fmamk_f16 v76, v73, 0x3b15, v69
	v_add_f16_e32 v72, v72, v62
	ds_write2_b32 v84, v88, v89 offset0:16 offset1:18
	v_add_f16_e32 v88, v14, v15
	v_sub_f16_e32 v14, v14, v15
	v_add_f16_e32 v40, v76, v13
	v_fmamk_f16 v76, v23, 0x3770, v77
	v_add_f16_e32 v72, v72, v64
	v_mul_f16_e32 v90, 0xba95, v11
	v_mul_f16_e32 v92, 0x388b, v9
	v_add_f16_e32 v40, v80, v40
	v_add_f16_sdwa v76, v76, v13 dst_sel:DWORD dst_unused:UNUSED_PAD src0_sel:DWORD src1_sel:WORD_1
	v_add_f16_e32 v80, v22, v19
	v_sub_f16_e32 v19, v22, v19
	v_sub_f16_e32 v22, v4, v62
	v_add_f16_e32 v4, v4, v62
	v_add_f16_e32 v64, v82, v76
	v_fmamk_f16 v76, v80, 0x2fb7, v83
	v_mul_f16_e32 v82, 0x2fb7, v6
	v_add_f16_e32 v62, v21, v16
	v_mul_f16_e32 v85, 0xbb7b, v22
	v_sub_f16_e32 v16, v21, v16
	v_add_f16_e32 v40, v76, v40
	v_fmamk_f16 v76, v19, 0x3bf1, v82
	v_mul_f16_e32 v21, 0xb5ac, v4
	v_fmamk_f16 v86, v62, 0xb5ac, v85
	v_add_f16_e32 v41, v72, v41
	v_sub_f16_e32 v72, v5, v3
	v_add_f16_e32 v64, v76, v64
	v_fmamk_f16 v76, v16, 0x3b7b, v21
	v_add_f16_e32 v40, v86, v40
	v_add_f16_e32 v86, v18, v17
	v_mul_f16_e32 v87, 0xb94e, v72
	v_add_f16_e32 v3, v5, v3
	v_add_f16_e32 v5, v76, v64
	v_sub_f16_e32 v64, v0, v2
	v_sub_f16_e32 v17, v18, v17
	v_fmamk_f16 v18, v86, 0xb9fd, v87
	v_mul_f16_e32 v76, 0xb9fd, v3
	v_add_f16_e32 v2, v0, v2
	v_mul_f16_e32 v89, 0xb3a8, v64
	v_add_f16_e32 v1, v41, v1
	v_add_f16_e32 v18, v18, v40
	v_fmamk_f16 v40, v17, 0x394e, v76
	v_mul_f16_e32 v0, 0xbbc4, v2
	v_fmamk_f16 v15, v88, 0xbbc4, v89
	v_mul_f16_e32 v41, 0xbb7b, v74
	v_mul_f16_e32 v95, 0xbbf1, v11
	v_add_f16_e32 v5, v40, v5
	v_fmamk_f16 v40, v73, 0x388b, v90
	v_add_f16_e32 v15, v15, v18
	v_fmamk_f16 v18, v14, 0x33a8, v0
	v_fmamk_f16 v93, v23, 0x3a95, v92
	v_mul_f16_e32 v94, 0xb5ac, v7
	v_fmamk_f16 v97, v73, 0x2fb7, v95
	v_mul_f16_e32 v98, 0xb3a8, v74
	v_add_f16_e32 v5, v18, v5
	v_add_f16_e32 v18, v40, v13
	v_fmamk_f16 v40, v75, 0xb5ac, v41
	v_mul_f16_e32 v100, 0xbbc4, v7
	v_mul_f16_e32 v101, 0xb3a8, v81
	v_add_f16_sdwa v93, v93, v13 dst_sel:DWORD dst_unused:UNUSED_PAD src0_sel:DWORD src1_sel:WORD_1
	v_fmamk_f16 v96, v20, 0x3b7b, v94
	v_add_f16_e32 v18, v40, v18
	v_mul_f16_e32 v40, 0x2fb7, v9
	v_add_f16_e32 v97, v97, v13
	v_fmamk_f16 v102, v75, 0xbbc4, v98
	v_fmamk_f16 v103, v20, 0x33a8, v100
	;; [unrolled: 1-line block ×4, first 2 shown]
	v_mul_f16_e32 v105, 0xbbc4, v6
	v_add_f16_e32 v93, v96, v93
	v_add_f16_e32 v96, v102, v97
	;; [unrolled: 1-line block ×3, first 2 shown]
	v_add_f16_sdwa v99, v99, v13 dst_sel:DWORD dst_unused:UNUSED_PAD src0_sel:DWORD src1_sel:WORD_1
	v_mul_f16_e32 v102, 0x3b7b, v81
	v_mul_f16_e32 v104, 0x394e, v22
	;; [unrolled: 1-line block ×4, first 2 shown]
	v_add_f16_e32 v97, v103, v99
	v_fmamk_f16 v99, v19, 0x33a8, v105
	v_mul_f16_e32 v103, 0xb5ac, v6
	v_fmamk_f16 v108, v62, 0xb9fd, v104
	v_fmamk_f16 v109, v16, 0xb94e, v106
	v_mul_f16_e32 v111, 0xba95, v72
	v_add_f16_e32 v93, v99, v93
	v_fmamk_f16 v99, v80, 0xb5ac, v102
	v_fmamk_f16 v107, v19, 0xbb7b, v103
	v_add_f16_e32 v18, v108, v18
	v_mul_f16_e32 v108, 0x3bf1, v72
	v_add_f16_e32 v93, v109, v93
	v_add_f16_e32 v96, v99, v96
	;; [unrolled: 1-line block ×3, first 2 shown]
	v_fmamk_f16 v99, v62, 0x3b15, v110
	v_mul_f16_e32 v107, 0x3b15, v4
	v_mul_f16_e32 v109, 0x2fb7, v3
	v_fmamk_f16 v112, v86, 0x2fb7, v108
	v_mul_f16_e32 v115, 0x388b, v3
	v_add_f16_e32 v96, v99, v96
	v_fmamk_f16 v99, v16, 0xb770, v107
	v_fmamk_f16 v113, v17, 0xbbf1, v109
	v_lshrrev_b32_e32 v91, 1, v28
	v_fmamk_f16 v114, v86, 0x388b, v111
	v_add_f16_e32 v18, v112, v18
	v_add_f16_e32 v97, v99, v97
	;; [unrolled: 1-line block ×3, first 2 shown]
	v_fmamk_f16 v99, v17, 0x3a95, v115
	v_mul_f16_e32 v112, 0x3770, v64
	v_mul_f16_e32 v113, 0x3b15, v2
	v_mul_lo_u32 v91, v91, 26
	v_add_f16_e32 v96, v114, v96
	v_mul_f16_e32 v114, 0xb94e, v64
	v_mul_f16_e32 v116, 0xb9fd, v2
	v_add_f16_e32 v97, v99, v97
	v_fmamk_f16 v99, v88, 0x3b15, v112
	v_fmamk_f16 v117, v14, 0xb770, v113
	;; [unrolled: 1-line block ×4, first 2 shown]
	v_or_b32_e32 v12, v91, v12
	v_add_f16_e32 v18, v99, v18
	v_add_f16_e32 v91, v117, v93
	v_mul_f16_e32 v93, 0xbb7b, v11
	v_mul_f16_e32 v99, 0xb5ac, v9
	v_add_f16_e32 v96, v118, v96
	v_add_f16_e32 v97, v119, v97
	v_pack_b32_f16 v1, v71, v1
	v_fmamk_f16 v71, v73, 0xb5ac, v93
	v_mul_f16_e32 v117, 0x394e, v74
	v_fmamk_f16 v118, v23, 0x3b7b, v99
	v_mul_f16_e32 v119, 0xb9fd, v7
	v_mul_f16_e32 v120, 0xb94e, v11
	v_add_f16_e32 v71, v71, v13
	v_fmamk_f16 v121, v75, 0xb9fd, v117
	v_add_f16_sdwa v118, v118, v13 dst_sel:DWORD dst_unused:UNUSED_PAD src0_sel:DWORD src1_sel:WORD_1
	v_fmamk_f16 v122, v20, 0xb94e, v119
	v_fmamk_f16 v123, v73, 0xb9fd, v120
	v_mul_f16_e32 v124, 0x3bf1, v74
	v_mul_f16_e32 v125, 0xb9fd, v9
	v_add_f16_e32 v71, v121, v71
	v_add_f16_e32 v118, v122, v118
	;; [unrolled: 1-line block ×3, first 2 shown]
	v_fmamk_f16 v122, v75, 0x2fb7, v124
	v_fmamk_f16 v123, v23, 0x394e, v125
	v_mul_f16_e32 v126, 0x2fb7, v7
	v_mul_f16_e32 v127, 0x3770, v81
	;; [unrolled: 1-line block ×3, first 2 shown]
	v_add_f16_e32 v121, v122, v121
	v_add_f16_sdwa v122, v123, v13 dst_sel:DWORD dst_unused:UNUSED_PAD src0_sel:DWORD src1_sel:WORD_1
	v_fmamk_f16 v123, v20, 0xbbf1, v126
	v_fmamk_f16 v129, v80, 0x3b15, v127
	;; [unrolled: 1-line block ×3, first 2 shown]
	v_mul_f16_e32 v131, 0xba95, v81
	v_mul_f16_e32 v132, 0x388b, v6
	v_add_f16_e32 v122, v123, v122
	v_add_f16_e32 v71, v129, v71
	v_add_f16_e32 v118, v130, v118
	v_fmamk_f16 v123, v80, 0x388b, v131
	v_fmamk_f16 v129, v19, 0x3a95, v132
	v_mul_f16_e32 v130, 0xbbf1, v22
	v_mul_f16_e32 v133, 0x2fb7, v4
	;; [unrolled: 1-line block ×3, first 2 shown]
	v_add_f16_e32 v121, v123, v121
	v_add_f16_e32 v122, v129, v122
	v_fmamk_f16 v123, v62, 0x2fb7, v130
	v_fmamk_f16 v129, v16, 0x3bf1, v133
	;; [unrolled: 1-line block ×3, first 2 shown]
	v_mul_f16_e32 v136, 0xbbc4, v4
	v_mul_f16_e32 v137, 0x33a8, v72
	v_add_f16_e32 v71, v123, v71
	v_add_f16_e32 v118, v129, v118
	v_mul_f16_e32 v123, 0xbbc4, v3
	v_mul_f16_e32 v129, 0x3770, v72
	v_add_f16_e32 v121, v135, v121
	v_fmamk_f16 v135, v16, 0xb3a8, v136
	v_fmamk_f16 v138, v86, 0xbbc4, v137
	;; [unrolled: 1-line block ×4, first 2 shown]
	v_mul_f16_e32 v141, 0x3b15, v3
	v_add_f16_e32 v122, v135, v122
	v_add_f16_e32 v71, v138, v71
	;; [unrolled: 1-line block ×4, first 2 shown]
	v_fmamk_f16 v135, v17, 0xb770, v141
	v_mul_f16_e32 v138, 0x3a95, v64
	v_mul_f16_e32 v139, 0x388b, v2
	;; [unrolled: 1-line block ×4, first 2 shown]
	v_add_f16_e32 v122, v135, v122
	v_fmamk_f16 v135, v88, 0x388b, v138
	v_fmamk_f16 v143, v14, 0xba95, v139
	;; [unrolled: 1-line block ×4, first 2 shown]
	v_pack_b32_f16 v5, v15, v5
	v_add_f16_e32 v15, v135, v71
	v_add_f16_e32 v71, v143, v118
	;; [unrolled: 1-line block ×4, first 2 shown]
	v_lshl_add_u32 v12, v12, 2, 0
	v_pack_b32_f16 v18, v18, v91
	v_pack_b32_f16 v91, v96, v97
	;; [unrolled: 1-line block ×4, first 2 shown]
	ds_write2_b32 v84, v10, v70 offset0:20 offset1:22
	ds_write_b32 v84, v8 offset:96
	ds_write2_b32 v12, v1, v5 offset1:2
	ds_write2_b32 v12, v18, v91 offset0:4 offset1:6
	ds_write2_b32 v12, v15, v71 offset0:8 offset1:10
	v_mul_f16_e32 v5, 0xb3a8, v11
	v_mul_f16_e32 v9, 0xbbc4, v9
	v_fma_f16 v1, v73, 0x3b15, -v69
	v_fma_f16 v8, v73, 0x388b, -v90
	;; [unrolled: 1-line block ×5, first 2 shown]
	v_fmamk_f16 v18, v73, 0xbbc4, v5
	v_fma_f16 v5, v73, 0xbbc4, -v5
	v_fmac_f16_e32 v77, 0xb770, v23
	v_fmac_f16_e32 v92, 0xba95, v23
	;; [unrolled: 1-line block ×5, first 2 shown]
	v_fmamk_f16 v69, v23, 0x33a8, v9
	v_fmac_f16_e32 v9, 0xb3a8, v23
	v_add_f16_e32 v1, v1, v13
	v_add_f16_sdwa v23, v77, v13 dst_sel:DWORD dst_unused:UNUSED_PAD src0_sel:DWORD src1_sel:WORD_1
	v_add_f16_e32 v8, v8, v13
	v_add_f16_sdwa v70, v92, v13 dst_sel:DWORD dst_unused:UNUSED_PAD src0_sel:DWORD src1_sel:WORD_1
	;; [unrolled: 2-line block ×7, first 2 shown]
	v_fma_f16 v13, v75, 0xb5ac, -v41
	v_fmac_f16_e32 v94, 0xbb7b, v20
	v_fma_f16 v41, v75, 0xbbc4, -v98
	v_mul_f16_e32 v7, 0x3b15, v7
	v_fma_f16 v77, v75, 0x388b, -v78
	v_add_f16_e32 v8, v13, v8
	v_add_f16_e32 v13, v94, v70
	v_fma_f16 v70, v75, 0xb9fd, -v117
	v_add_f16_e32 v10, v41, v10
	v_fma_f16 v41, v75, 0x2fb7, -v124
	v_fmac_f16_e32 v119, 0x394e, v20
	v_add_f16_e32 v1, v77, v1
	v_add_f16_e32 v11, v70, v11
	v_mul_f16_e32 v70, 0x3770, v74
	v_add_f16_e32 v15, v41, v15
	v_fmamk_f16 v74, v20, 0xb770, v7
	v_fmac_f16_e32 v7, 0x3770, v20
	v_add_f16_e32 v71, v119, v71
	v_fmamk_f16 v41, v75, 0x3b15, v70
	v_fma_f16 v70, v75, 0x3b15, -v70
	v_fmac_f16_e32 v105, 0xb3a8, v19
	v_add_f16_e32 v7, v7, v9
	v_fma_f16 v9, v80, 0xbbc4, -v101
	v_add_f16_e32 v18, v41, v18
	v_add_f16_e32 v41, v74, v69
	v_fma_f16 v69, v80, 0x2fb7, -v83
	v_fmac_f16_e32 v128, 0x3770, v19
	v_mul_f16_e32 v6, 0xb9fd, v6
	v_fmac_f16_e32 v79, 0xba95, v20
	v_add_f16_e32 v5, v70, v5
	v_add_f16_e32 v1, v69, v1
	v_fma_f16 v69, v80, 0xb5ac, -v102
	v_add_f16_e32 v8, v9, v8
	v_add_f16_e32 v9, v105, v13
	v_fma_f16 v13, v80, 0x3b15, -v127
	v_add_f16_e32 v70, v128, v71
	v_fmamk_f16 v71, v19, 0x394e, v6
	v_fmac_f16_e32 v6, 0xb94e, v19
	v_add_f16_e32 v23, v79, v23
	v_fmac_f16_e32 v126, 0x3bf1, v20
	v_fmac_f16_e32 v82, 0xbbf1, v19
	v_add_f16_e32 v10, v69, v10
	v_fma_f16 v69, v80, 0x388b, -v131
	v_add_f16_e32 v11, v13, v11
	v_mul_f16_e32 v13, 0xb94e, v81
	v_add_f16_e32 v6, v6, v7
	v_fma_f16 v7, v62, 0xb9fd, -v104
	v_fmac_f16_e32 v106, 0x394e, v16
	v_fmac_f16_e32 v100, 0xb3a8, v20
	v_add_f16_e32 v20, v126, v73
	v_add_f16_e32 v23, v82, v23
	;; [unrolled: 1-line block ×3, first 2 shown]
	v_fmac_f16_e32 v132, 0xba95, v19
	v_fmamk_f16 v69, v80, 0xb9fd, v13
	v_fma_f16 v13, v80, 0xb9fd, -v13
	v_fmac_f16_e32 v21, 0xbb7b, v16
	v_add_f16_e32 v7, v7, v8
	v_add_f16_e32 v8, v106, v9
	v_fma_f16 v9, v62, 0x2fb7, -v130
	v_mul_f16_e32 v4, 0x388b, v4
	v_add_f16_e32 v40, v100, v40
	v_fmac_f16_e32 v103, 0x3b7b, v19
	v_add_f16_e32 v19, v132, v20
	v_fma_f16 v20, v62, 0xb5ac, -v85
	v_add_f16_e32 v5, v13, v5
	v_add_f16_e32 v13, v21, v23
	v_fma_f16 v21, v62, 0xbbc4, -v134
	v_add_f16_e32 v9, v9, v11
	v_mul_f16_e32 v11, 0x3a95, v22
	v_fmamk_f16 v23, v16, 0xba95, v4
	v_fmac_f16_e32 v4, 0x3a95, v16
	v_add_f16_e32 v40, v103, v40
	v_add_f16_e32 v1, v20, v1
	v_fma_f16 v20, v62, 0x3b15, -v110
	v_fmac_f16_e32 v107, 0x3770, v16
	v_add_f16_e32 v15, v21, v15
	v_fmamk_f16 v21, v62, 0x388b, v11
	v_fma_f16 v11, v62, 0x388b, -v11
	v_fmac_f16_e32 v76, 0xb94e, v17
	v_add_f16_e32 v4, v4, v6
	v_fma_f16 v6, v86, 0x2fb7, -v108
	v_fmac_f16_e32 v109, 0x3bf1, v17
	v_add_f16_e32 v10, v20, v10
	v_add_f16_e32 v20, v107, v40
	;; [unrolled: 1-line block ×4, first 2 shown]
	v_fma_f16 v13, v86, 0x388b, -v111
	v_add_f16_e32 v6, v6, v7
	v_fmac_f16_e32 v115, 0xba95, v17
	v_add_f16_e32 v7, v109, v8
	v_fma_f16 v8, v86, 0xbbc4, -v137
	v_add_f16_e32 v18, v69, v18
	v_fmac_f16_e32 v133, 0xbbf1, v16
	v_add_f16_e32 v10, v13, v10
	v_add_f16_e32 v13, v115, v20
	v_fma_f16 v20, v86, 0x3b15, -v129
	v_add_f16_e32 v8, v8, v9
	v_mul_f16_e32 v9, 0xbb7b, v72
	v_add_f16_e32 v22, v133, v70
	v_add_f16_e32 v18, v21, v18
	v_fma_f16 v21, v86, 0xb9fd, -v87
	v_fmac_f16_e32 v123, 0x33a8, v17
	v_mul_f16_e32 v3, 0xb5ac, v3
	v_add_f16_e32 v15, v20, v15
	v_fmamk_f16 v20, v86, 0xb5ac, v9
	v_add_f16_e32 v1, v21, v1
	v_add_f16_e32 v21, v123, v22
	v_fmac_f16_e32 v141, 0x3770, v17
	v_fma_f16 v9, v86, 0xb5ac, -v9
	v_fmamk_f16 v22, v17, 0x3b7b, v3
	v_fmac_f16_e32 v3, 0xbb7b, v17
	v_add_f16_e32 v17, v20, v18
	v_fma_f16 v18, v88, 0xbbc4, -v89
	v_fmac_f16_e32 v136, 0x33a8, v16
	v_add_f16_e32 v41, v71, v41
	v_add_f16_e32 v5, v9, v5
	;; [unrolled: 1-line block ×4, first 2 shown]
	v_fma_f16 v1, v88, 0xb9fd, -v114
	v_fma_f16 v4, v88, 0x3b15, -v112
	v_fmac_f16_e32 v113, 0x3770, v14
	v_add_f16_e32 v16, v136, v19
	v_mul_f16_e32 v2, 0x2fb7, v2
	v_subrev_nc_u32_e32 v62, 26, v24
	v_add_f16_e32 v19, v23, v41
	v_add_f16_e32 v1, v1, v10
	v_mul_f16_e32 v10, 0x3bf1, v64
	v_add_f16_e32 v4, v4, v6
	v_add_f16_e32 v6, v113, v7
	v_fma_f16 v7, v88, 0xb5ac, -v140
	v_add_f16_e32 v16, v141, v16
	v_fmac_f16_e32 v116, 0xb94e, v14
	v_fmamk_f16 v20, v14, 0xbbf1, v2
	v_fmac_f16_e32 v2, 0x3bf1, v14
	v_fmac_f16_e32 v142, 0xbb7b, v14
	v_cndmask_b32_e64 v69, v62, v24, s0
	v_add_f16_e32 v19, v22, v19
	v_fmamk_f16 v18, v88, 0x2fb7, v10
	v_fma_f16 v10, v88, 0x2fb7, -v10
	v_add_f16_e32 v7, v7, v15
	v_fma_f16 v15, v88, 0x388b, -v138
	v_fmac_f16_e32 v139, 0x3a95, v14
	v_fmac_f16_e32 v0, 0xb3a8, v14
	v_add_f16_e32 v13, v116, v13
	v_add_f16_e32 v2, v2, v3
	;; [unrolled: 1-line block ×3, first 2 shown]
	v_mul_i32_i24_e32 v40, 12, v69
	v_mov_b32_e32 v41, 0
	v_add_f16_e32 v14, v18, v17
	v_add_f16_e32 v17, v20, v19
	v_add_f16_e32 v5, v10, v5
	v_add_f16_e32 v8, v15, v8
	v_add_f16_e32 v10, v139, v21
	v_pack_b32_f16 v3, v7, v3
	v_pack_b32_f16 v7, v1, v13
	;; [unrolled: 1-line block ×3, first 2 shown]
	v_add_f16_e32 v6, v0, v11
	v_lshlrev_b64 v[0:1], 2, v[40:41]
	v_pack_b32_f16 v14, v14, v17
	v_pack_b32_f16 v2, v5, v2
	;; [unrolled: 1-line block ×3, first 2 shown]
	ds_write2_b32 v12, v14, v2 offset0:12 offset1:14
	ds_write2_b32 v12, v3, v5 offset0:16 offset1:18
	;; [unrolled: 1-line block ×3, first 2 shown]
	v_add_co_u32 v4, s1, s12, v0
	v_pack_b32_f16 v2, v9, v6
	v_add_co_ci_u32_e64 v5, s1, s13, v1, s1
	v_and_b32_e32 v6, 0xff, v28
	v_cmp_lt_u32_e64 s1, 25, v24
	ds_write_b32 v12, v2 offset:96
	s_waitcnt lgkmcnt(0)
	s_barrier
	buffer_gl0_inv
	s_clause 0x1
	global_load_dwordx4 v[0:3], v[4:5], off offset:96
	global_load_dwordx4 v[8:11], v[4:5], off offset:112
	v_mul_lo_u16 v6, 0x4f, v6
	v_lshrrev_b16 v64, 11, v6
	v_mul_lo_u16 v6, v64, 26
	v_sub_nc_u16 v40, v28, v6
	v_mov_b32_e32 v6, 12
	v_mul_u32_u24_sdwa v6, v40, v6 dst_sel:DWORD dst_unused:UNUSED_PAD src0_sel:BYTE_0 src1_sel:DWORD
	v_lshlrev_b32_e32 v6, 2, v6
	s_clause 0x3
	global_load_dwordx4 v[12:15], v6, s[12:13] offset:128
	global_load_dwordx4 v[16:19], v[4:5], off offset:128
	global_load_dwordx4 v[20:23], v6, s[12:13] offset:112
	global_load_dwordx4 v[4:7], v6, s[12:13] offset:96
	ds_read_b32 v72, v59
	ds_read_b32 v71, v60
	;; [unrolled: 1-line block ×7, first 2 shown]
	ds_read_b32 v79, v42 offset:5200
	s_waitcnt lgkmcnt(7)
	v_lshrrev_b32_e32 v73, 16, v72
	s_waitcnt lgkmcnt(6)
	v_lshrrev_b32_e32 v74, 16, v71
	;; [unrolled: 2-line block ×3, first 2 shown]
	s_waitcnt vmcnt(5)
	v_mul_f16_sdwa v80, v0, v73 dst_sel:DWORD dst_unused:UNUSED_PAD src0_sel:WORD_1 src1_sel:DWORD
	v_mul_f16_sdwa v75, v0, v72 dst_sel:DWORD dst_unused:UNUSED_PAD src0_sel:WORD_1 src1_sel:DWORD
	;; [unrolled: 1-line block ×5, first 2 shown]
	v_fmac_f16_e32 v80, v0, v72
	v_fma_f16 v82, v0, v73, -v75
	v_mul_f16_sdwa v0, v1, v71 dst_sel:DWORD dst_unused:UNUSED_PAD src0_sel:WORD_1 src1_sel:DWORD
	v_fmac_f16_e32 v81, v1, v71
	s_waitcnt lgkmcnt(4)
	v_lshrrev_b32_e32 v75, 16, v68
	ds_read2_b32 v[71:72], v50 offset0:164 offset1:216
	v_fmac_f16_e32 v83, v2, v70
	v_fma_f16 v84, v1, v74, -v0
	ds_read2_b32 v[73:74], v53 offset0:12 offset1:64
	v_mul_f16_sdwa v85, v75, v3 dst_sel:DWORD dst_unused:UNUSED_PAD src0_sel:DWORD src1_sel:WORD_1
	v_mul_f16_sdwa v0, v68, v3 dst_sel:DWORD dst_unused:UNUSED_PAD src0_sel:DWORD src1_sel:WORD_1
	s_waitcnt lgkmcnt(5)
	v_lshrrev_b32_e32 v1, 16, v67
	v_fma_f16 v86, v2, v76, -v77
	s_waitcnt lgkmcnt(4)
	v_lshrrev_b32_e32 v70, 16, v65
	v_fmac_f16_e32 v85, v68, v3
	v_fma_f16 v87, v75, v3, -v0
	ds_read2_b32 v[2:3], v61 offset0:92 offset1:144
	ds_read2_b32 v[75:76], v52 offset0:68 offset1:120
	s_waitcnt vmcnt(4)
	v_mul_f16_sdwa v88, v1, v8 dst_sel:DWORD dst_unused:UNUSED_PAD src0_sel:DWORD src1_sel:WORD_1
	v_mul_f16_sdwa v0, v67, v8 dst_sel:DWORD dst_unused:UNUSED_PAD src0_sel:DWORD src1_sel:WORD_1
	v_mul_f16_sdwa v89, v70, v9 dst_sel:DWORD dst_unused:UNUSED_PAD src0_sel:DWORD src1_sel:WORD_1
	v_mul_f16_sdwa v68, v65, v9 dst_sel:DWORD dst_unused:UNUSED_PAD src0_sel:DWORD src1_sel:WORD_1
	ds_read2_b32 v[77:78], v52 offset0:172 offset1:224
	v_fmac_f16_e32 v88, v67, v8
	v_fma_f16 v90, v1, v8, -v0
	s_waitcnt lgkmcnt(4)
	v_lshrrev_b32_e32 v0, 16, v72
	v_fmac_f16_e32 v89, v65, v9
	v_fma_f16 v91, v70, v9, -v68
	s_waitcnt lgkmcnt(3)
	v_lshrrev_b32_e32 v8, 16, v74
	v_mul_f16_sdwa v1, v72, v10 dst_sel:DWORD dst_unused:UNUSED_PAD src0_sel:DWORD src1_sel:WORD_1
	v_mul_f16_sdwa v9, v74, v11 dst_sel:DWORD dst_unused:UNUSED_PAD src0_sel:DWORD src1_sel:WORD_1
	;; [unrolled: 1-line block ×3, first 2 shown]
	v_lshrrev_b32_e32 v65, 16, v79
	v_mul_f16_sdwa v94, v8, v11 dst_sel:DWORD dst_unused:UNUSED_PAD src0_sel:DWORD src1_sel:WORD_1
	v_fma_f16 v93, v0, v10, -v1
	v_fma_f16 v95, v8, v11, -v9
	v_fmac_f16_e32 v92, v72, v10
	s_waitcnt vmcnt(3)
	v_mul_f16_sdwa v0, v65, v15 dst_sel:DWORD dst_unused:UNUSED_PAD src0_sel:DWORD src1_sel:WORD_1
	v_mul_f16_sdwa v1, v79, v15 dst_sel:DWORD dst_unused:UNUSED_PAD src0_sel:DWORD src1_sel:WORD_1
	v_fmac_f16_e32 v94, v74, v11
	s_waitcnt lgkmcnt(2)
	v_lshrrev_b32_e32 v8, 16, v2
	v_mul_f16_sdwa v9, v2, v12 dst_sel:DWORD dst_unused:UNUSED_PAD src0_sel:DWORD src1_sel:WORD_1
	s_waitcnt lgkmcnt(1)
	v_lshrrev_b32_e32 v10, 16, v75
	v_mul_f16_sdwa v11, v75, v13 dst_sel:DWORD dst_unused:UNUSED_PAD src0_sel:DWORD src1_sel:WORD_1
	v_fmac_f16_e32 v0, v79, v15
	v_fma_f16 v1, v65, v15, -v1
	v_fma_f16 v9, v8, v12, -v9
	v_mul_f16_sdwa v8, v8, v12 dst_sel:DWORD dst_unused:UNUSED_PAD src0_sel:DWORD src1_sel:WORD_1
	v_fma_f16 v65, v10, v13, -v11
	v_mul_f16_sdwa v15, v10, v13 dst_sel:DWORD dst_unused:UNUSED_PAD src0_sel:DWORD src1_sel:WORD_1
	ds_read2_b32 v[10:11], v53 offset0:116 offset1:168
	s_waitcnt lgkmcnt(1)
	v_lshrrev_b32_e32 v67, 16, v77
	v_mul_f16_sdwa v68, v77, v14 dst_sel:DWORD dst_unused:UNUSED_PAD src0_sel:DWORD src1_sel:WORD_1
	v_lshrrev_b32_e32 v70, 16, v3
	v_fmac_f16_e32 v8, v2, v12
	v_lshrrev_b32_e32 v2, 16, v76
	v_fmac_f16_e32 v15, v75, v13
	v_fma_f16 v68, v67, v14, -v68
	v_mul_f16_sdwa v67, v67, v14 dst_sel:DWORD dst_unused:UNUSED_PAD src0_sel:DWORD src1_sel:WORD_1
	s_waitcnt vmcnt(2)
	v_mul_f16_sdwa v96, v70, v17 dst_sel:DWORD dst_unused:UNUSED_PAD src0_sel:DWORD src1_sel:WORD_1
	v_mul_f16_sdwa v97, v2, v18 dst_sel:DWORD dst_unused:UNUSED_PAD src0_sel:DWORD src1_sel:WORD_1
	;; [unrolled: 1-line block ×3, first 2 shown]
	ds_read2_b32 v[74:75], v63 offset0:84 offset1:188
	v_fmac_f16_e32 v67, v77, v14
	v_fmac_f16_e32 v96, v3, v17
	v_mul_f16_sdwa v3, v3, v17 dst_sel:DWORD dst_unused:UNUSED_PAD src0_sel:DWORD src1_sel:WORD_1
	v_fmac_f16_e32 v97, v76, v18
	ds_read2_b32 v[76:77], v54 offset0:4 offset1:108
	v_lshrrev_b32_e32 v12, 16, v78
	v_mul_f16_sdwa v14, v78, v19 dst_sel:DWORD dst_unused:UNUSED_PAD src0_sel:DWORD src1_sel:WORD_1
	v_fma_f16 v99, v70, v17, -v3
	s_waitcnt lgkmcnt(2)
	v_lshrrev_b32_e32 v3, 16, v11
	v_lshrrev_b32_e32 v17, 16, v10
	v_mul_f16_sdwa v98, v12, v19 dst_sel:DWORD dst_unused:UNUSED_PAD src0_sel:DWORD src1_sel:WORD_1
	v_fma_f16 v101, v12, v19, -v14
	v_mul_f16_sdwa v12, v11, v16 dst_sel:DWORD dst_unused:UNUSED_PAD src0_sel:DWORD src1_sel:WORD_1
	v_lshrrev_b32_e32 v14, 16, v73
	v_mul_f16_sdwa v102, v3, v16 dst_sel:DWORD dst_unused:UNUSED_PAD src0_sel:DWORD src1_sel:WORD_1
	v_fma_f16 v100, v2, v18, -v13
	v_lshrrev_b32_e32 v13, 16, v71
	v_fma_f16 v103, v3, v16, -v12
	s_waitcnt vmcnt(1)
	v_mul_f16_sdwa v3, v14, v22 dst_sel:DWORD dst_unused:UNUSED_PAD src0_sel:DWORD src1_sel:WORD_1
	v_fmac_f16_e32 v102, v11, v16
	v_mul_f16_sdwa v12, v17, v23 dst_sel:DWORD dst_unused:UNUSED_PAD src0_sel:DWORD src1_sel:WORD_1
	v_mul_f16_sdwa v11, v71, v21 dst_sel:DWORD dst_unused:UNUSED_PAD src0_sel:DWORD src1_sel:WORD_1
	;; [unrolled: 1-line block ×4, first 2 shown]
	v_fmac_f16_e32 v3, v73, v22
	v_fmac_f16_e32 v12, v10, v23
	v_mul_f16_sdwa v18, v10, v23 dst_sel:DWORD dst_unused:UNUSED_PAD src0_sel:DWORD src1_sel:WORD_1
	v_fma_f16 v10, v13, v21, -v11
	v_fma_f16 v11, v14, v22, -v16
	s_waitcnt lgkmcnt(1)
	v_lshrrev_b32_e32 v16, 16, v75
	s_waitcnt lgkmcnt(0)
	v_lshrrev_b32_e32 v22, 16, v77
	v_fmac_f16_e32 v98, v78, v19
	v_fmac_f16_e32 v2, v71, v21
	ds_read2_b32 v[78:79], v42 offset1:156
	v_fma_f16 v13, v17, v23, -v18
	v_lshrrev_b32_e32 v21, 16, v76
	v_mul_f16_sdwa v17, v75, v20 dst_sel:DWORD dst_unused:UNUSED_PAD src0_sel:DWORD src1_sel:WORD_1
	v_mul_f16_sdwa v14, v16, v20 dst_sel:DWORD dst_unused:UNUSED_PAD src0_sel:DWORD src1_sel:WORD_1
	s_waitcnt vmcnt(0)
	v_mul_f16_sdwa v18, v22, v6 dst_sel:DWORD dst_unused:UNUSED_PAD src0_sel:DWORD src1_sel:WORD_1
	v_mul_f16_sdwa v63, v77, v6 dst_sel:DWORD dst_unused:UNUSED_PAD src0_sel:DWORD src1_sel:WORD_1
	;; [unrolled: 1-line block ×3, first 2 shown]
	v_fma_f16 v16, v16, v20, -v17
	v_fmac_f16_e32 v14, v75, v20
	v_fmac_f16_e32 v18, v77, v6
	v_mul_f16_sdwa v20, v76, v5 dst_sel:DWORD dst_unused:UNUSED_PAD src0_sel:DWORD src1_sel:WORD_1
	v_sub_f16_e32 v77, v82, v101
	v_add_f16_e32 v105, v82, v101
	v_lshrrev_b32_e32 v23, 16, v74
	v_fmac_f16_e32 v19, v76, v5
	v_fma_f16 v20, v21, v5, -v20
	v_add_f16_e32 v104, v80, v98
	v_mul_f16_e32 v106, 0xba95, v77
	v_sub_f16_e32 v107, v84, v100
	v_sub_f16_e32 v108, v80, v98
	v_mul_f16_e32 v5, 0x388b, v105
	v_add_f16_e32 v109, v84, v100
	v_mul_f16_sdwa v17, v23, v7 dst_sel:DWORD dst_unused:UNUSED_PAD src0_sel:DWORD src1_sel:WORD_1
	v_mul_f16_sdwa v70, v74, v7 dst_sel:DWORD dst_unused:UNUSED_PAD src0_sel:DWORD src1_sel:WORD_1
	v_fma_f16 v6, v22, v6, -v63
	v_fma_f16 v63, v104, 0x388b, -v106
	v_add_f16_e32 v21, v81, v97
	v_mul_f16_e32 v110, 0xbb7b, v107
	v_fmamk_f16 v111, v108, 0x3a95, v5
	v_fmac_f16_e32 v5, 0xba95, v108
	v_sub_f16_e32 v22, v81, v97
	v_mul_f16_e32 v71, 0xb5ac, v109
	v_mul_f16_e32 v112, 0xbbf1, v77
	v_fmac_f16_e32 v17, v74, v7
	s_waitcnt lgkmcnt(0)
	v_add_f16_e32 v63, v63, v78
	v_fma_f16 v72, v21, 0xb5ac, -v110
	v_add_f16_sdwa v5, v5, v78 dst_sel:DWORD dst_unused:UNUSED_PAD src0_sel:DWORD src1_sel:WORD_1
	v_fmamk_f16 v113, v22, 0x3b7b, v71
	v_fmac_f16_e32 v71, 0xbb7b, v22
	v_fma_f16 v73, v104, 0x2fb7, -v112
	v_fma_f16 v7, v23, v7, -v70
	v_mul_f16_e32 v70, 0x2fb7, v105
	v_mul_f16_e32 v114, 0xb3a8, v107
	v_add_f16_e32 v72, v72, v63
	v_add_f16_e32 v5, v71, v5
	v_add_f16_e32 v63, v73, v78
	v_fmamk_f16 v115, v108, 0x3bf1, v70
	v_sub_f16_e32 v116, v86, v99
	v_fmac_f16_e32 v70, 0xbbf1, v108
	v_mul_f16_e32 v71, 0xbbc4, v109
	v_fma_f16 v73, v21, 0xbbc4, -v114
	v_add_f16_e32 v119, v86, v99
	v_add_f16_e32 v23, v83, v96
	v_mul_f16_e32 v117, 0xb3a8, v116
	v_add_f16_sdwa v70, v70, v78 dst_sel:DWORD dst_unused:UNUSED_PAD src0_sel:DWORD src1_sel:WORD_1
	v_fmamk_f16 v118, v22, 0x33a8, v71
	v_fmac_f16_e32 v71, 0xb3a8, v22
	v_add_f16_e32 v73, v73, v63
	v_sub_f16_e32 v63, v83, v96
	v_mul_f16_e32 v75, 0xbbc4, v119
	v_add_f16_e32 v123, v87, v103
	v_fma_f16 v74, v23, 0xbbc4, -v117
	v_add_f16_e32 v76, v71, v70
	v_mul_f16_e32 v120, 0x3b7b, v116
	v_fmamk_f16 v121, v63, 0x33a8, v75
	v_sub_f16_e32 v122, v87, v103
	v_fmac_f16_e32 v75, 0xb3a8, v63
	v_sub_f16_e32 v71, v85, v102
	v_mul_f16_e32 v126, 0xb9fd, v123
	v_add_f16_e32 v72, v74, v72
	v_mul_f16_e32 v74, 0xb5ac, v119
	v_fma_f16 v124, v23, 0xb5ac, -v120
	v_add_f16_e32 v70, v85, v102
	v_mul_f16_e32 v125, 0x394e, v122
	v_add_f16_e32 v5, v75, v5
	v_fmamk_f16 v128, v71, 0xb94e, v126
	v_fmac_f16_e32 v126, 0x394e, v71
	v_add_f16_e32 v130, v90, v95
	v_fmamk_f16 v127, v63, 0xbb7b, v74
	v_fmac_f16_e32 v74, 0x3b7b, v63
	v_fma_f16 v75, v70, 0xb9fd, -v125
	v_add_f16_e32 v124, v124, v73
	v_mul_f16_e32 v129, 0x3770, v122
	v_add_f16_e32 v5, v126, v5
	v_sub_f16_e32 v126, v90, v95
	v_sub_f16_e32 v73, v88, v94
	v_mul_f16_e32 v133, 0x2fb7, v130
	v_add_f16_e32 v80, v80, v78
	v_add_f16_e32 v74, v74, v76
	;; [unrolled: 1-line block ×3, first 2 shown]
	v_fma_f16 v76, v70, 0x3b15, -v129
	v_mul_f16_e32 v131, 0x3b15, v123
	v_add_f16_e32 v72, v88, v94
	v_mul_f16_e32 v132, 0x3bf1, v126
	v_fmamk_f16 v135, v73, 0xbbf1, v133
	v_fmac_f16_e32 v133, 0x3bf1, v73
	v_mul_f16_e32 v136, 0xba95, v126
	v_add_f16_e32 v80, v80, v81
	v_add_f16_sdwa v81, v82, v78 dst_sel:DWORD dst_unused:UNUSED_PAD src0_sel:DWORD src1_sel:WORD_1
	v_add_f16_e32 v76, v76, v124
	v_fmamk_f16 v124, v71, 0xb770, v131
	v_fmac_f16_e32 v131, 0x3770, v71
	v_fma_f16 v134, v72, 0x2fb7, -v132
	v_mul_f16_e32 v137, 0x388b, v130
	v_add_f16_e32 v5, v133, v5
	v_fma_f16 v133, v72, 0x388b, -v136
	v_sub_f16_e32 v138, v91, v93
	v_add_f16_e32 v140, v91, v93
	v_add_f16_e32 v81, v81, v84
	;; [unrolled: 1-line block ×4, first 2 shown]
	v_fmamk_f16 v139, v73, 0x3a95, v137
	v_fmac_f16_e32 v137, 0xba95, v73
	v_add_f16_e32 v74, v89, v92
	v_mul_f16_e32 v141, 0x3770, v138
	v_sub_f16_e32 v75, v89, v92
	v_mul_f16_e32 v142, 0x3b15, v140
	v_add_f16_e32 v76, v133, v76
	v_mul_f16_e32 v133, 0xb94e, v138
	v_add_f16_e32 v80, v80, v83
	v_add_f16_e32 v81, v81, v86
	;; [unrolled: 1-line block ×3, first 2 shown]
	v_fma_f16 v137, v74, 0x3b15, -v141
	v_fmamk_f16 v143, v75, 0xb770, v142
	v_fmac_f16_e32 v142, 0x3770, v75
	v_fma_f16 v144, v74, 0xb9fd, -v133
	v_mul_f16_e32 v145, 0xb9fd, v140
	v_add_f16_e32 v80, v80, v85
	v_add_f16_e32 v81, v81, v87
	;; [unrolled: 1-line block ×5, first 2 shown]
	v_fmamk_f16 v144, v75, 0x394e, v145
	v_fmac_f16_e32 v145, 0xb94e, v75
	v_lshlrev_b32_e32 v5, 2, v69
	v_cndmask_b32_e64 v69, 0, 0x548, s1
	v_lshrrev_b32_e32 v76, 16, v79
	v_add_f16_e32 v80, v80, v88
	v_add_f16_e32 v81, v81, v90
	;; [unrolled: 1-line block ×3, first 2 shown]
	v_mul_f16_sdwa v145, v79, v4 dst_sel:DWORD dst_unused:UNUSED_PAD src0_sel:DWORD src1_sel:WORD_1
	v_add3_u32 v5, 0, v69, v5
	v_mul_f16_sdwa v69, v76, v4 dst_sel:DWORD dst_unused:UNUSED_PAD src0_sel:DWORD src1_sel:WORD_1
	v_add_f16_e32 v80, v80, v89
	v_add_f16_e32 v81, v81, v91
	v_fma_f16 v76, v76, v4, -v145
	v_fmac_f16_e32 v69, v79, v4
	v_pack_b32_f16 v4, v142, v131
	v_pack_b32_f16 v79, v134, v137
	v_add_nc_u32_e32 v131, 0x400, v5
	v_mul_f16_e32 v134, 0xb770, v77
	v_add_f16_e32 v80, v80, v92
	v_add_f16_e32 v81, v81, v93
	s_barrier
	buffer_gl0_inv
	ds_write2_b32 v131, v4, v79 offset0:4 offset1:30
	v_fmamk_f16 v4, v104, 0x3b15, v134
	v_fma_f16 v79, v104, 0x3b15, -v134
	v_mul_f16_e32 v131, 0xbb7b, v77
	v_mul_f16_e32 v134, 0xb94e, v77
	;; [unrolled: 1-line block ×7, first 2 shown]
	v_add_f16_e32 v80, v80, v94
	v_add_f16_e32 v81, v81, v95
	v_mul_f16_e32 v94, 0xba95, v107
	v_fmamk_f16 v106, v104, 0x388b, v106
	v_fmamk_f16 v112, v104, 0x2fb7, v112
	;; [unrolled: 1-line block ×3, first 2 shown]
	v_fma_f16 v131, v104, 0xb5ac, -v131
	v_fmamk_f16 v145, v104, 0xb9fd, v134
	v_fma_f16 v134, v104, 0xb9fd, -v134
	v_fmamk_f16 v146, v104, 0xbbc4, v77
	;; [unrolled: 2-line block ×3, first 2 shown]
	v_fmac_f16_e32 v142, 0xb770, v108
	v_fmamk_f16 v149, v108, 0x3b7b, v147
	v_fmac_f16_e32 v147, 0xbb7b, v108
	v_fmamk_f16 v150, v108, 0x394e, v148
	;; [unrolled: 2-line block ×3, first 2 shown]
	v_fmac_f16_e32 v105, 0xb3a8, v108
	v_add_f16_e32 v4, v4, v78
	v_add_f16_e32 v80, v80, v102
	;; [unrolled: 1-line block ×3, first 2 shown]
	v_fmamk_f16 v95, v21, 0x388b, v94
	v_mul_f16_e32 v102, 0x388b, v109
	v_mul_f16_e32 v103, 0xbbf1, v116
	v_add_f16_sdwa v82, v104, v78 dst_sel:DWORD dst_unused:UNUSED_PAD src0_sel:DWORD src1_sel:WORD_1
	v_add_f16_e32 v79, v79, v78
	v_add_f16_sdwa v83, v142, v78 dst_sel:DWORD dst_unused:UNUSED_PAD src0_sel:DWORD src1_sel:WORD_1
	v_add_f16_e32 v84, v106, v78
	;; [unrolled: 2-line block ×10, first 2 shown]
	v_add_f16_e32 v81, v81, v99
	v_add_f16_e32 v4, v95, v4
	v_fmamk_f16 v95, v22, 0x3a95, v102
	v_fmamk_f16 v96, v23, 0x2fb7, v103
	v_mul_f16_e32 v99, 0x2fb7, v119
	v_mul_f16_e32 v105, 0xbb7b, v122
	v_add_f16_e32 v80, v80, v97
	v_add_f16_e32 v82, v95, v82
	;; [unrolled: 1-line block ×3, first 2 shown]
	v_fmamk_f16 v95, v63, 0x3bf1, v99
	v_fmamk_f16 v96, v70, 0xb5ac, v105
	v_mul_f16_e32 v97, 0xb5ac, v123
	v_add_f16_e32 v81, v81, v100
	v_mul_f16_e32 v100, 0xb94e, v126
	v_add_f16_e32 v82, v95, v82
	v_add_f16_e32 v4, v96, v4
	v_fmamk_f16 v95, v71, 0x3b7b, v97
	v_mul_f16_e32 v96, 0xb9fd, v130
	v_fmamk_f16 v112, v72, 0xb9fd, v100
	v_mul_f16_e32 v115, 0xb3a8, v138
	v_add_f16_e32 v80, v80, v98
	v_add_f16_e32 v82, v95, v82
	v_fmamk_f16 v95, v73, 0x394e, v96
	v_add_f16_e32 v4, v112, v4
	v_fmamk_f16 v98, v74, 0xbbc4, v115
	v_fmamk_f16 v110, v21, 0xb5ac, v110
	v_add_f16_e32 v86, v113, v86
	v_add_f16_e32 v82, v95, v82
	v_fmamk_f16 v95, v21, 0xbbc4, v114
	v_add_f16_e32 v4, v98, v4
	v_add_f16_e32 v84, v110, v84
	;; [unrolled: 3-line block ×6, first 2 shown]
	v_add_f16_e32 v86, v128, v86
	v_fmamk_f16 v98, v72, 0x2fb7, v132
	v_mul_f16_e32 v101, 0xbbc4, v140
	v_add_f16_e32 v85, v95, v85
	v_add_f16_e32 v87, v124, v87
	v_fmamk_f16 v95, v72, 0x388b, v136
	v_add_f16_e32 v84, v98, v84
	v_fmamk_f16 v98, v75, 0x33a8, v101
	;; [unrolled: 2-line block ×4, first 2 shown]
	v_add_f16_e32 v87, v139, v87
	v_add_f16_e32 v82, v98, v82
	;; [unrolled: 1-line block ×6, first 2 shown]
	v_mul_f16_e32 v95, 0x394e, v107
	v_pack_b32_f16 v80, v80, v81
	v_pack_b32_f16 v4, v4, v82
	;; [unrolled: 1-line block ×4, first 2 shown]
	v_fmamk_f16 v84, v21, 0xb9fd, v95
	v_mul_f16_e32 v85, 0xb9fd, v109
	v_mul_f16_e32 v86, 0x3bf1, v107
	ds_write2_b32 v5, v80, v4 offset1:26
	ds_write2_b32 v5, v81, v82 offset0:52 offset1:78
	v_mul_f16_e32 v82, 0x2fb7, v109
	v_add_f16_e32 v4, v84, v104
	v_fmamk_f16 v80, v22, 0xb94e, v85
	v_fmamk_f16 v81, v21, 0x2fb7, v86
	v_mul_f16_e32 v84, 0x3770, v116
	v_mul_f16_e32 v87, 0x3b15, v119
	;; [unrolled: 1-line block ×3, first 2 shown]
	v_add_f16_e32 v80, v80, v88
	v_add_f16_e32 v81, v81, v89
	v_fmamk_f16 v88, v22, 0xbbf1, v82
	v_fmamk_f16 v89, v23, 0x3b15, v84
	;; [unrolled: 1-line block ×3, first 2 shown]
	v_mul_f16_e32 v110, 0x388b, v119
	v_mul_f16_e32 v112, 0x2fb7, v123
	v_add_f16_e32 v88, v88, v91
	v_add_f16_e32 v4, v89, v4
	;; [unrolled: 1-line block ×3, first 2 shown]
	v_fmamk_f16 v89, v23, 0x388b, v104
	v_fmamk_f16 v91, v63, 0x3a95, v110
	v_mul_f16_e32 v98, 0xbbf1, v122
	v_mul_f16_e32 v117, 0xbbc4, v123
	;; [unrolled: 1-line block ×3, first 2 shown]
	v_add_f16_e32 v81, v89, v81
	v_add_f16_e32 v88, v91, v88
	v_fmamk_f16 v89, v70, 0x2fb7, v98
	v_fmamk_f16 v91, v71, 0x3bf1, v112
	;; [unrolled: 1-line block ×3, first 2 shown]
	v_mul_f16_e32 v121, 0x3b15, v130
	v_mul_f16_e32 v113, 0x33a8, v122
	v_add_f16_e32 v4, v89, v4
	v_add_f16_e32 v80, v91, v80
	v_fmamk_f16 v89, v71, 0xb3a8, v117
	v_mul_f16_e32 v91, 0xbbc4, v130
	v_mul_f16_e32 v125, 0x3a95, v138
	v_add_f16_e32 v4, v120, v4
	v_fmamk_f16 v120, v73, 0xb770, v121
	v_add_f16_e32 v88, v89, v88
	v_fmamk_f16 v89, v73, 0xb3a8, v91
	v_fmamk_f16 v114, v70, 0xbbc4, v113
	v_mul_f16_e32 v107, 0x3770, v107
	v_mul_f16_e32 v109, 0x3b15, v109
	v_add_f16_e32 v88, v120, v88
	v_add_f16_e32 v80, v89, v80
	v_mul_f16_e32 v89, 0x388b, v140
	v_fmamk_f16 v120, v74, 0x388b, v125
	v_add_f16_e32 v81, v114, v81
	v_mul_f16_e32 v114, 0x3770, v126
	v_mul_f16_e32 v116, 0xb94e, v116
	v_fmamk_f16 v128, v75, 0xba95, v89
	v_add_f16_e32 v4, v120, v4
	v_mul_f16_e32 v119, 0xb9fd, v119
	v_fmamk_f16 v124, v72, 0x3b15, v114
	v_mul_f16_e32 v127, 0xb5ac, v140
	v_add_f16_e32 v80, v128, v80
	v_fmamk_f16 v128, v21, 0x3b15, v107
	v_fma_f16 v107, v21, 0x3b15, -v107
	v_add_f16_e32 v81, v124, v81
	v_mul_f16_e32 v124, 0xbb7b, v138
	v_pack_b32_f16 v4, v4, v80
	v_add_f16_e32 v80, v128, v93
	v_fmamk_f16 v93, v22, 0xb770, v109
	v_fmac_f16_e32 v109, 0x3770, v22
	v_add_f16_e32 v77, v107, v77
	v_fmamk_f16 v107, v63, 0x394e, v119
	v_fmamk_f16 v120, v74, 0xb5ac, v124
	v_add_f16_e32 v93, v93, v111
	v_fmamk_f16 v111, v23, 0xb9fd, v116
	v_add_f16_e32 v78, v109, v78
	v_mul_f16_e32 v109, 0x3a95, v122
	v_fmac_f16_e32 v119, 0xb94e, v63
	v_add_f16_e32 v93, v107, v93
	v_add_f16_e32 v80, v111, v80
	v_fma_f16 v111, v23, 0xb9fd, -v116
	v_fmamk_f16 v107, v70, 0x388b, v109
	v_mul_f16_e32 v116, 0x388b, v123
	v_add_f16_e32 v81, v120, v81
	v_add_f16_e32 v78, v119, v78
	;; [unrolled: 1-line block ×3, first 2 shown]
	v_mul_f16_e32 v111, 0xbb7b, v126
	v_add_f16_e32 v80, v107, v80
	v_fmamk_f16 v107, v71, 0xba95, v116
	v_fma_f16 v109, v70, 0x388b, -v109
	v_fmac_f16_e32 v116, 0x3a95, v71
	v_mul_f16_e32 v120, 0xb5ac, v130
	v_fmamk_f16 v119, v72, 0xb5ac, v111
	v_add_f16_e32 v93, v107, v93
	v_add_f16_e32 v77, v109, v77
	;; [unrolled: 1-line block ×3, first 2 shown]
	v_fmamk_f16 v107, v73, 0x3b7b, v120
	v_fma_f16 v109, v72, 0xb5ac, -v111
	v_fmac_f16_e32 v120, 0xbb7b, v73
	v_mul_f16_e32 v111, 0x3bf1, v138
	v_mul_f16_e32 v116, 0x2fb7, v140
	v_fmamk_f16 v129, v75, 0x3b7b, v127
	v_add_f16_e32 v93, v107, v93
	v_add_f16_e32 v77, v109, v77
	;; [unrolled: 1-line block ×3, first 2 shown]
	v_fmamk_f16 v107, v74, 0x2fb7, v111
	v_fmamk_f16 v109, v75, 0xbbf1, v116
	v_fma_f16 v111, v74, 0x2fb7, -v111
	v_fmac_f16_e32 v116, 0x3bf1, v75
	v_add_f16_e32 v88, v129, v88
	v_fmac_f16_e32 v85, 0x394e, v22
	v_fmac_f16_e32 v87, 0x3770, v63
	v_add_f16_e32 v77, v111, v77
	v_add_f16_e32 v78, v116, v78
	v_pack_b32_f16 v81, v81, v88
	v_fmac_f16_e32 v110, 0xba95, v63
	v_fmac_f16_e32 v99, 0xbbf1, v63
	;; [unrolled: 1-line block ×3, first 2 shown]
	v_pack_b32_f16 v77, v77, v78
	v_fma_f16 v78, v21, 0x2fb7, -v86
	ds_write2_b32 v5, v4, v81 offset0:104 offset1:130
	v_add_f16_e32 v81, v85, v106
	v_fma_f16 v85, v23, 0x388b, -v104
	v_fma_f16 v4, v21, 0xb9fd, -v95
	v_add_f16_e32 v78, v78, v108
	v_fma_f16 v21, v21, 0x388b, -v94
	v_fmac_f16_e32 v102, 0xba95, v22
	v_add_f16_sdwa v22, v76, v66 dst_sel:DWORD dst_unused:UNUSED_PAD src0_sel:DWORD src1_sel:WORD_1
	v_add_f16_e32 v4, v4, v90
	v_add_f16_e32 v78, v85, v78
	v_fma_f16 v85, v70, 0xbbc4, -v113
	v_add_f16_e32 v21, v21, v79
	v_fma_f16 v84, v23, 0x3b15, -v84
	v_add_f16_e32 v83, v102, v83
	v_add_f16_e32 v22, v22, v20
	;; [unrolled: 1-line block ×3, first 2 shown]
	v_fma_f16 v85, v72, 0x3b15, -v114
	v_fma_f16 v23, v23, 0x2fb7, -v103
	v_add_f16_e32 v82, v82, v92
	v_add_f16_e32 v4, v84, v4
	v_fma_f16 v84, v70, 0x2fb7, -v98
	v_add_f16_e32 v78, v85, v78
	v_add_f16_e32 v85, v69, v66
	;; [unrolled: 1-line block ×5, first 2 shown]
	v_fma_f16 v70, v70, 0xb5ac, -v105
	v_add_f16_e32 v85, v85, v19
	v_fmac_f16_e32 v97, 0xbb7b, v71
	v_add_f16_e32 v81, v87, v81
	v_fmac_f16_e32 v112, 0xbbf1, v71
	v_add_f16_e32 v82, v110, v82
	v_add_f16_e32 v79, v85, v18
	v_fmac_f16_e32 v117, 0x33a8, v71
	v_add_f16_e32 v4, v84, v4
	v_fma_f16 v84, v72, 0xbbc4, -v118
	v_add_f16_e32 v22, v22, v7
	v_add_f16_e32 v63, v79, v17
	v_add_f16_e32 v21, v70, v21
	v_add_f16_e32 v23, v97, v23
	v_fma_f16 v70, v72, 0xb9fd, -v100
	v_fmac_f16_e32 v96, 0xb94e, v73
	v_add_f16_e32 v63, v63, v14
	v_add_f16_e32 v81, v112, v81
	v_add_f16_e32 v82, v117, v82
	v_fmac_f16_e32 v91, 0x33a8, v73
	v_add_f16_e32 v4, v84, v4
	v_add_f16_e32 v63, v63, v2
	v_fmac_f16_e32 v121, 0x3770, v73
	v_fma_f16 v84, v74, 0x388b, -v125
	v_add_f16_e32 v22, v22, v16
	v_add_f16_e32 v21, v70, v21
	v_add_f16_e32 v63, v63, v3
	v_add_f16_e32 v23, v96, v23
	v_fma_f16 v70, v74, 0xbbc4, -v115
	v_fmac_f16_e32 v101, 0xb3a8, v75
	v_add_f16_e32 v81, v91, v81
	v_add_f16_e32 v63, v63, v12
	;; [unrolled: 1-line block ×4, first 2 shown]
	v_fma_f16 v84, v74, 0xb5ac, -v124
	v_fmac_f16_e32 v127, 0xbb7b, v75
	v_add_f16_e32 v63, v63, v8
	v_add_f16_e32 v22, v22, v10
	v_fmac_f16_e32 v89, 0x3a95, v75
	v_add_f16_e32 v21, v70, v21
	v_add_f16_e32 v23, v101, v23
	;; [unrolled: 1-line block ×7, first 2 shown]
	v_pack_b32_f16 v21, v21, v23
	v_add_f16_e32 v23, v63, v67
	v_sub_f16_e32 v63, v76, v1
	v_add_f16_e32 v22, v22, v13
	v_pack_b32_f16 v70, v78, v71
	v_pack_b32_f16 v4, v4, v72
	v_add_f16_e32 v71, v69, v0
	v_add_f16_e32 v72, v76, v1
	v_mul_f16_e32 v73, 0xb770, v63
	v_add_f16_e32 v22, v22, v9
	v_sub_f16_e32 v69, v69, v0
	v_sub_f16_e32 v74, v20, v68
	v_mul_f16_e32 v75, 0x3b15, v72
	v_fmamk_f16 v78, v71, 0x3b15, v73
	v_add_f16_e32 v20, v20, v68
	v_add_f16_e32 v22, v22, v65
	;; [unrolled: 1-line block ×3, first 2 shown]
	v_fmamk_f16 v79, v69, 0x3770, v75
	v_sub_f16_e32 v19, v19, v67
	v_add_f16_e32 v67, v78, v66
	v_mul_f16_e32 v78, 0x388b, v20
	v_add_f16_e32 v22, v22, v68
	v_mul_f16_e32 v68, 0xba95, v74
	v_add_f16_sdwa v79, v79, v66 dst_sel:DWORD dst_unused:UNUSED_PAD src0_sel:DWORD src1_sel:WORD_1
	v_sub_f16_e32 v82, v6, v65
	v_add_f16_e32 v6, v6, v65
	v_fmamk_f16 v65, v19, 0x3a95, v78
	v_fmamk_f16 v81, v76, 0x388b, v68
	v_add_f16_e32 v83, v18, v15
	v_sub_f16_e32 v15, v18, v15
	v_mul_f16_e32 v18, 0xbbf1, v82
	v_mul_f16_e32 v84, 0x2fb7, v6
	v_add_f16_e32 v65, v65, v79
	v_sub_f16_e32 v79, v7, v9
	v_add_f16_e32 v67, v81, v67
	v_fmamk_f16 v81, v83, 0x2fb7, v18
	v_fmamk_f16 v85, v15, 0x3bf1, v84
	v_add_f16_e32 v7, v7, v9
	v_add_f16_e32 v9, v17, v8
	v_mul_f16_e32 v86, 0xbb7b, v79
	v_add_f16_e32 v67, v81, v67
	v_sub_f16_e32 v8, v17, v8
	v_mul_f16_e32 v17, 0xb5ac, v7
	v_add_f16_e32 v65, v85, v65
	v_fmamk_f16 v81, v9, 0xb5ac, v86
	v_sub_f16_e32 v85, v16, v13
	v_add_f16_e32 v13, v16, v13
	v_fmamk_f16 v16, v8, 0x3b7b, v17
	v_add_f16_e32 v87, v14, v12
	v_sub_f16_e32 v12, v14, v12
	v_mul_f16_e32 v14, 0xb94e, v85
	v_add_f16_e32 v67, v81, v67
	v_sub_f16_e32 v81, v10, v11
	v_add_f16_e32 v80, v119, v80
	v_add_f16_e32 v16, v16, v65
	v_fmamk_f16 v65, v87, 0xb9fd, v14
	v_add_f16_e32 v90, v2, v3
	v_mul_f16_e32 v91, 0xb3a8, v81
	v_add_f16_e32 v80, v107, v80
	v_add_f16_e32 v88, v109, v93
	;; [unrolled: 1-line block ×5, first 2 shown]
	v_fmamk_f16 v23, v90, 0xbbc4, v91
	v_mov_b32_e32 v65, 0x548
	v_add_f16_e32 v10, v10, v11
	v_mul_f16_e32 v11, 0xba95, v63
	v_pack_b32_f16 v80, v80, v88
	v_mul_f16_e32 v88, 0xb9fd, v13
	v_sub_f16_e32 v2, v2, v3
	v_add_f16_e32 v3, v23, v22
	v_mul_u32_u24_sdwa v22, v64, v65 dst_sel:DWORD dst_unused:UNUSED_PAD src0_sel:WORD_0 src1_sel:DWORD
	v_mov_b32_e32 v23, 2
	v_fmamk_f16 v64, v71, 0x388b, v11
	v_mul_f16_e32 v65, 0xbb7b, v74
	v_fmamk_f16 v89, v12, 0x394e, v88
	v_mul_f16_e32 v95, 0xbbf1, v63
	v_lshlrev_b32_sdwa v23, v23, v40 dst_sel:DWORD dst_unused:UNUSED_PAD src0_sel:DWORD src1_sel:BYTE_0
	v_add_f16_e32 v40, v64, v66
	v_fmamk_f16 v64, v76, 0xb5ac, v65
	v_add_f16_e32 v16, v89, v16
	v_mul_f16_e32 v89, 0x388b, v72
	v_mul_f16_e32 v94, 0xb5ac, v20
	v_fmamk_f16 v97, v71, 0x2fb7, v95
	v_add_f16_e32 v40, v64, v40
	v_mul_f16_e32 v64, 0x2fb7, v72
	v_fmamk_f16 v93, v69, 0x3a95, v89
	v_mul_f16_e32 v98, 0xb3a8, v74
	v_mul_f16_e32 v100, 0xbbc4, v20
	;; [unrolled: 1-line block ×3, first 2 shown]
	v_fmamk_f16 v99, v69, 0x3bf1, v64
	v_add_f16_sdwa v93, v93, v66 dst_sel:DWORD dst_unused:UNUSED_PAD src0_sel:DWORD src1_sel:WORD_1
	v_fmamk_f16 v96, v19, 0x3b7b, v94
	v_add_f16_e32 v97, v97, v66
	v_fmamk_f16 v102, v76, 0xbbc4, v98
	v_add_f16_sdwa v99, v99, v66 dst_sel:DWORD dst_unused:UNUSED_PAD src0_sel:DWORD src1_sel:WORD_1
	v_fmamk_f16 v103, v19, 0x33a8, v100
	v_fmamk_f16 v104, v83, 0xbbc4, v101
	v_mul_f16_e32 v105, 0xbbc4, v6
	v_add_f16_e32 v93, v96, v93
	v_add_f16_e32 v96, v102, v97
	v_add_f16_e32 v97, v103, v99
	v_add_f16_e32 v40, v104, v40
	v_fmamk_f16 v99, v15, 0x33a8, v105
	v_mul_f16_e32 v102, 0x3b7b, v82
	v_mul_f16_e32 v103, 0xb5ac, v6
	;; [unrolled: 1-line block ×4, first 2 shown]
	v_add_f16_e32 v93, v99, v93
	v_fmamk_f16 v99, v83, 0xb5ac, v102
	v_fmamk_f16 v107, v15, 0xbb7b, v103
	;; [unrolled: 1-line block ×4, first 2 shown]
	v_mul_f16_e32 v110, 0x3770, v79
	v_add_f16_e32 v96, v99, v96
	v_add_f16_e32 v97, v107, v97
	;; [unrolled: 1-line block ×4, first 2 shown]
	v_fmamk_f16 v99, v9, 0x3b15, v110
	v_mul_f16_e32 v107, 0x3b15, v7
	v_mul_f16_e32 v108, 0x3bf1, v85
	;; [unrolled: 1-line block ×4, first 2 shown]
	v_add_f16_e32 v96, v99, v96
	v_fmamk_f16 v99, v8, 0xb770, v107
	v_fmamk_f16 v112, v87, 0x2fb7, v108
	;; [unrolled: 1-line block ×4, first 2 shown]
	v_mul_f16_e32 v115, 0x388b, v13
	v_mul_f16_e32 v67, 0xbbc4, v10
	v_add_f16_e32 v97, v99, v97
	v_add_f16_e32 v40, v112, v40
	;; [unrolled: 1-line block ×4, first 2 shown]
	v_fmamk_f16 v99, v12, 0x3a95, v115
	v_mul_f16_e32 v112, 0x3770, v81
	v_mul_f16_e32 v113, 0x3b15, v10
	;; [unrolled: 1-line block ×4, first 2 shown]
	v_fmamk_f16 v92, v2, 0x33a8, v67
	v_add_f16_e32 v97, v99, v97
	v_fmamk_f16 v99, v90, 0x3b15, v112
	v_fmamk_f16 v117, v2, 0xb770, v113
	;; [unrolled: 1-line block ×4, first 2 shown]
	v_add_f16_e32 v16, v92, v16
	v_add_f16_e32 v40, v99, v40
	v_add_f16_e32 v92, v117, v93
	v_add_f16_e32 v93, v118, v96
	v_add_f16_e32 v96, v119, v97
	v_add3_u32 v97, 0, v22, v23
	v_pack_b32_f16 v0, v0, v1
	v_pack_b32_f16 v1, v3, v16
	;; [unrolled: 1-line block ×4, first 2 shown]
	ds_write2_b32 v5, v80, v77 offset0:156 offset1:182
	ds_write2_b32 v5, v70, v4 offset0:208 offset1:234
	ds_write_b32 v5, v21 offset:1248
	ds_write2_b32 v97, v0, v1 offset1:26
	ds_write2_b32 v97, v3, v16 offset0:52 offset1:78
	v_fma_f16 v0, v71, 0x3b15, -v73
	v_mul_f16_e32 v1, 0xbb7b, v63
	v_fma_f16 v3, v71, 0x388b, -v11
	v_mul_f16_e32 v4, 0xb94e, v63
	v_mul_f16_e32 v11, 0xb3a8, v63
	v_fmac_f16_e32 v75, 0xb770, v69
	v_mul_f16_e32 v23, 0xb5ac, v72
	v_mul_f16_e32 v40, 0xb9fd, v72
	;; [unrolled: 1-line block ×3, first 2 shown]
	v_add_f16_e32 v0, v0, v66
	v_fma_f16 v68, v76, 0x388b, -v68
	v_fma_f16 v5, v71, 0x2fb7, -v95
	v_fmamk_f16 v16, v71, 0xb5ac, v1
	v_fma_f16 v1, v71, 0xb5ac, -v1
	v_fmamk_f16 v21, v71, 0xb9fd, v4
	;; [unrolled: 2-line block ×3, first 2 shown]
	v_fma_f16 v11, v71, 0xbbc4, -v11
	v_fmac_f16_e32 v89, 0xba95, v69
	v_fmac_f16_e32 v64, 0xbbf1, v69
	v_fmamk_f16 v70, v69, 0x3b7b, v23
	v_fmac_f16_e32 v23, 0xbb7b, v69
	v_fmamk_f16 v71, v69, 0x394e, v40
	;; [unrolled: 2-line block ×3, first 2 shown]
	v_fmac_f16_e32 v63, 0xb3a8, v69
	v_add_f16_sdwa v69, v75, v66 dst_sel:DWORD dst_unused:UNUSED_PAD src0_sel:DWORD src1_sel:WORD_1
	v_add_f16_e32 v3, v3, v66
	v_fmac_f16_e32 v78, 0xba95, v19
	v_fma_f16 v65, v76, 0xb5ac, -v65
	v_add_f16_e32 v0, v68, v0
	v_mul_f16_e32 v68, 0x394e, v74
	v_add_f16_sdwa v73, v89, v66 dst_sel:DWORD dst_unused:UNUSED_PAD src0_sel:DWORD src1_sel:WORD_1
	v_add_f16_e32 v5, v5, v66
	v_add_f16_sdwa v64, v64, v66 dst_sel:DWORD dst_unused:UNUSED_PAD src0_sel:DWORD src1_sel:WORD_1
	v_add_f16_e32 v16, v16, v66
	;; [unrolled: 2-line block ×8, first 2 shown]
	v_add_f16_e32 v3, v65, v3
	v_fma_f16 v65, v76, 0xbbc4, -v98
	v_fmamk_f16 v69, v76, 0xb9fd, v68
	v_mul_f16_e32 v75, 0xb9fd, v20
	v_fma_f16 v68, v76, 0xb9fd, -v68
	v_mul_f16_e32 v77, 0x2fb7, v20
	v_add_f16_e32 v5, v65, v5
	v_add_f16_e32 v16, v69, v16
	v_fmamk_f16 v65, v19, 0xb94e, v75
	v_mul_f16_e32 v69, 0x3bf1, v74
	v_add_f16_e32 v1, v68, v1
	v_fmamk_f16 v68, v19, 0xbbf1, v77
	v_mul_f16_e32 v20, 0x3b15, v20
	v_add_f16_e32 v65, v65, v70
	v_fmamk_f16 v70, v76, 0x2fb7, v69
	v_fma_f16 v69, v76, 0x2fb7, -v69
	v_add_f16_e32 v68, v68, v71
	v_fmamk_f16 v71, v19, 0xb770, v20
	v_fmac_f16_e32 v20, 0x3770, v19
	v_add_f16_e32 v21, v70, v21
	v_mul_f16_e32 v70, 0x3770, v74
	v_add_f16_e32 v4, v69, v4
	v_fma_f16 v18, v83, 0x2fb7, -v18
	v_fmac_f16_e32 v84, 0xbbf1, v15
	v_add_f16_e32 v20, v20, v63
	v_fmamk_f16 v69, v76, 0x3b15, v70
	v_fma_f16 v70, v76, 0x3b15, -v70
	v_mul_f16_e32 v63, 0x3770, v82
	v_add_f16_e32 v0, v18, v0
	v_add_f16_e32 v18, v84, v66
	;; [unrolled: 1-line block ×3, first 2 shown]
	v_fma_f16 v69, v83, 0xbbc4, -v101
	v_add_f16_e32 v11, v70, v11
	v_fma_f16 v66, v83, 0xb5ac, -v102
	v_mul_f16_e32 v70, 0x3b15, v6
	v_fmac_f16_e32 v77, 0x3bf1, v19
	v_add_f16_e32 v3, v69, v3
	v_fmamk_f16 v69, v83, 0x3b15, v63
	v_add_f16_e32 v5, v66, v5
	v_fmamk_f16 v66, v15, 0xb770, v70
	v_fmac_f16_e32 v94, 0xbb7b, v19
	v_fmac_f16_e32 v100, 0xb3a8, v19
	v_add_f16_e32 v16, v69, v16
	v_mul_f16_e32 v69, 0xba95, v82
	v_fmac_f16_e32 v75, 0x394e, v19
	v_add_f16_e32 v19, v77, v40
	v_add_f16_e32 v40, v71, v72
	v_fma_f16 v63, v83, 0x3b15, -v63
	v_mul_f16_e32 v72, 0x388b, v6
	v_add_f16_e32 v65, v66, v65
	v_fmamk_f16 v66, v83, 0x388b, v69
	v_fma_f16 v69, v83, 0x388b, -v69
	v_add_f16_e32 v1, v63, v1
	v_fmamk_f16 v63, v15, 0x3a95, v72
	v_mul_f16_e32 v6, 0xb9fd, v6
	v_add_f16_e32 v21, v66, v21
	v_mul_f16_e32 v66, 0xb94e, v82
	v_add_f16_e32 v4, v69, v4
	v_add_f16_e32 v63, v63, v68
	v_fmac_f16_e32 v72, 0xba95, v15
	v_fmamk_f16 v69, v15, 0x394e, v6
	v_fmamk_f16 v68, v83, 0xb9fd, v66
	v_fma_f16 v66, v83, 0xb9fd, -v66
	v_fmac_f16_e32 v17, 0xbb7b, v8
	v_add_f16_e32 v64, v100, v64
	v_fmac_f16_e32 v105, 0xb3a8, v15
	v_fmac_f16_e32 v103, 0x3b7b, v15
	;; [unrolled: 1-line block ×4, first 2 shown]
	v_add_f16_e32 v15, v72, v19
	v_add_f16_e32 v19, v68, v22
	;; [unrolled: 1-line block ×3, first 2 shown]
	v_fma_f16 v40, v9, 0xb5ac, -v86
	v_add_f16_e32 v11, v66, v11
	v_fma_f16 v66, v9, 0xb9fd, -v104
	v_add_f16_e32 v17, v17, v18
	v_mul_f16_e32 v18, 0xbbf1, v79
	v_add_f16_e32 v64, v103, v64
	v_add_f16_e32 v6, v6, v20
	v_add_f16_e32 v0, v40, v0
	v_add_f16_e32 v3, v66, v3
	v_fma_f16 v20, v9, 0x3b15, -v110
	v_fmac_f16_e32 v107, 0x3770, v8
	v_fmamk_f16 v40, v9, 0x2fb7, v18
	v_mul_f16_e32 v66, 0x2fb7, v7
	v_add_f16_e32 v23, v75, v23
	v_add_f16_e32 v5, v20, v5
	v_add_f16_e32 v20, v107, v64
	v_add_f16_e32 v16, v40, v16
	v_fmamk_f16 v40, v8, 0x3bf1, v66
	v_mul_f16_e32 v64, 0x33a8, v79
	v_add_f16_e32 v23, v70, v23
	v_fma_f16 v18, v9, 0x2fb7, -v18
	v_fmac_f16_e32 v66, 0xbbf1, v8
	v_mul_f16_e32 v69, 0xbbc4, v7
	v_add_f16_e32 v40, v40, v65
	v_fmamk_f16 v65, v9, 0xbbc4, v64
	v_add_f16_e32 v1, v18, v1
	v_add_f16_e32 v18, v66, v23
	v_fmamk_f16 v23, v8, 0xb3a8, v69
	v_fma_f16 v64, v9, 0xbbc4, -v64
	v_add_f16_e32 v21, v65, v21
	v_mul_f16_e32 v65, 0x3a95, v79
	v_mul_f16_e32 v7, 0x388b, v7
	v_add_f16_e32 v23, v23, v63
	v_fma_f16 v14, v87, 0xb9fd, -v14
	v_add_f16_e32 v4, v64, v4
	v_fmamk_f16 v63, v9, 0x388b, v65
	v_fma_f16 v9, v9, 0x388b, -v65
	v_fmac_f16_e32 v69, 0x33a8, v8
	v_fmamk_f16 v64, v8, 0xba95, v7
	v_fmac_f16_e32 v7, 0x3a95, v8
	v_fmac_f16_e32 v88, 0xb94e, v12
	v_add_f16_e32 v9, v9, v11
	v_fma_f16 v11, v87, 0x2fb7, -v108
	v_add_f16_e32 v0, v14, v0
	v_mul_f16_e32 v14, 0x33a8, v85
	v_fmac_f16_e32 v106, 0x394e, v8
	v_add_f16_e32 v8, v69, v15
	v_add_f16_e32 v15, v63, v19
	;; [unrolled: 1-line block ×6, first 2 shown]
	v_fma_f16 v11, v87, 0x388b, -v111
	v_fmac_f16_e32 v115, 0xba95, v12
	v_fmamk_f16 v17, v87, 0xbbc4, v14
	v_mul_f16_e32 v22, 0xbbc4, v13
	v_fma_f16 v14, v87, 0xbbc4, -v14
	v_add_f16_e32 v5, v11, v5
	v_add_f16_e32 v11, v115, v20
	;; [unrolled: 1-line block ×3, first 2 shown]
	v_fmamk_f16 v17, v12, 0xb3a8, v22
	v_mul_f16_e32 v20, 0x3770, v85
	v_fmac_f16_e32 v22, 0x33a8, v12
	v_mul_f16_e32 v63, 0x3b15, v13
	v_mul_f16_e32 v13, 0xb5ac, v13
	v_add_f16_e32 v17, v17, v40
	v_fmamk_f16 v40, v87, 0x3b15, v20
	v_fma_f16 v20, v87, 0x3b15, -v20
	v_add_f16_e32 v1, v14, v1
	v_add_f16_e32 v14, v22, v18
	v_fmamk_f16 v22, v12, 0x3b7b, v13
	v_add_f16_e32 v40, v40, v21
	v_mul_f16_e32 v21, 0xbb7b, v85
	v_add_f16_e32 v4, v20, v4
	v_fmac_f16_e32 v109, 0x3bf1, v12
	v_fmamk_f16 v18, v12, 0xb770, v63
	v_fmac_f16_e32 v63, 0x3770, v12
	v_fmamk_f16 v20, v87, 0xb5ac, v21
	v_fmac_f16_e32 v13, 0xbb7b, v12
	v_fma_f16 v21, v87, 0xb5ac, -v21
	v_fmac_f16_e32 v67, 0xb3a8, v2
	v_add_f16_e32 v8, v63, v8
	v_add_f16_e32 v12, v20, v15
	;; [unrolled: 1-line block ×3, first 2 shown]
	v_fma_f16 v19, v90, 0xbbc4, -v91
	v_fma_f16 v20, v90, 0x3b15, -v112
	v_add_f16_e32 v9, v21, v9
	v_add_f16_e32 v6, v13, v6
	;; [unrolled: 1-line block ×4, first 2 shown]
	v_mul_f16_e32 v0, 0x3a95, v81
	v_add_f16_e32 v21, v20, v3
	v_fma_f16 v3, v90, 0xb9fd, -v114
	v_fmac_f16_e32 v116, 0xb94e, v2
	v_mul_f16_e32 v13, 0x388b, v10
	v_fmamk_f16 v7, v90, 0x388b, v0
	v_add_f16_e32 v73, v94, v73
	v_add_f16_e32 v3, v3, v5
	;; [unrolled: 1-line block ×3, first 2 shown]
	v_fmamk_f16 v11, v2, 0xba95, v13
	v_add_f16_e32 v7, v7, v16
	v_fma_f16 v0, v90, 0x388b, -v0
	v_fmac_f16_e32 v13, 0x3a95, v2
	v_mul_f16_e32 v16, 0xbb7b, v81
	v_mul_f16_e32 v19, 0xb5ac, v10
	v_add_f16_e32 v71, v105, v73
	v_add_f16_e32 v18, v18, v23
	;; [unrolled: 1-line block ×5, first 2 shown]
	v_fmamk_f16 v13, v90, 0xb5ac, v16
	v_fmamk_f16 v14, v2, 0x3b7b, v19
	v_fma_f16 v16, v90, 0xb5ac, -v16
	v_mul_f16_e32 v17, 0x3bf1, v81
	v_mul_f16_e32 v10, 0x2fb7, v10
	v_add_f16_e32 v68, v106, v71
	v_add_f16_e32 v14, v14, v18
	v_add_f16_e32 v4, v16, v4
	v_fmamk_f16 v16, v90, 0x2fb7, v17
	v_fmamk_f16 v18, v2, 0xbbf1, v10
	v_fma_f16 v17, v90, 0x2fb7, -v17
	v_fmac_f16_e32 v10, 0x3bf1, v2
	v_fmac_f16_e32 v19, 0xbb7b, v2
	v_add_f16_e32 v64, v109, v68
	v_fmac_f16_e32 v113, 0x3770, v2
	v_add_f16_e32 v13, v13, v40
	v_add_f16_e32 v2, v16, v12
	;; [unrolled: 1-line block ×7, first 2 shown]
	v_pack_b32_f16 v7, v7, v11
	v_pack_b32_f16 v10, v13, v14
	;; [unrolled: 1-line block ×8, first 2 shown]
	v_add_nc_u32_e32 v5, 0x400, v97
	v_pack_b32_f16 v8, v22, v63
	v_lshl_add_u32 v20, v38, 2, 0
	ds_write2_b32 v97, v7, v10 offset0:104 offset1:130
	ds_write2_b32 v97, v2, v6 offset0:156 offset1:182
	;; [unrolled: 1-line block ×4, first 2 shown]
	ds_write_b32 v97, v8 offset:1248
	s_waitcnt lgkmcnt(0)
	s_barrier
	buffer_gl0_inv
	ds_read2_b32 v[8:9], v54 offset0:82 offset1:134
	ds_read2_b32 v[14:15], v50 offset0:164 offset1:216
	;; [unrolled: 1-line block ×4, first 2 shown]
	ds_read_b32 v65, v42
	ds_read_b32 v64, v55
	;; [unrolled: 1-line block ×3, first 2 shown]
	ds_read2_b32 v[0:1], v50 offset0:34 offset1:86
	v_lshl_add_u32 v19, v36, 2, 0
	ds_read2_b32 v[10:11], v53 offset0:12 offset1:64
	ds_read2_b32 v[2:3], v53 offset0:116 offset1:168
	;; [unrolled: 1-line block ×4, first 2 shown]
	ds_read_b32 v60, v60
	ds_read_b32 v59, v59
	;; [unrolled: 1-line block ×3, first 2 shown]
	v_sub_nc_u32_e32 v18, 0, v58
	v_sub_nc_u32_e32 v58, 0, v56
	;; [unrolled: 1-line block ×3, first 2 shown]
                                        ; implicit-def: $vgpr50
                                        ; implicit-def: $vgpr53
                                        ; implicit-def: $vgpr52
	v_add_nc_u32_e32 v18, v51, v18
                                        ; implicit-def: $vgpr51
	s_and_saveexec_b32 s1, s0
	s_cbranch_execz .LBB0_15
; %bb.14:
	ds_read_b32 v21, v18
	ds_read_b32 v22, v42 offset:2600
	ds_read_b32 v50, v42 offset:3952
	ds_read_b32 v52, v42 offset:5304
	v_mov_b32_e32 v62, v35
	s_waitcnt lgkmcnt(3)
	v_lshrrev_b32_e32 v23, 16, v21
	s_waitcnt lgkmcnt(2)
	v_lshrrev_b32_e32 v63, 16, v22
	s_waitcnt lgkmcnt(1)
	v_lshrrev_b32_e32 v51, 16, v50
	s_waitcnt lgkmcnt(0)
	v_lshrrev_b32_e32 v53, 16, v52
.LBB0_15:
	s_or_b32 exec_lo, exec_lo, s1
	v_mul_i32_i24_e32 v40, 3, v28
	v_mul_u32_u24_e32 v57, 3, v24
	s_waitcnt lgkmcnt(12)
	v_lshrrev_b32_e32 v103, 16, v16
	v_lshrrev_b32_e32 v104, 16, v14
	v_lshrrev_b32_e32 v105, 16, v8
	v_lshlrev_b64 v[69:70], 2, v[40:41]
	v_mul_i32_i24_e32 v40, 3, v39
	v_lshlrev_b32_e32 v57, 2, v57
	v_lshrrev_b32_e32 v100, 16, v17
	v_lshrrev_b32_e32 v101, 16, v15
	;; [unrolled: 1-line block ×3, first 2 shown]
	v_lshlrev_b64 v[72:73], 2, v[40:41]
	v_mul_i32_i24_e32 v40, 3, v38
	v_add_co_u32 v69, s1, s12, v69
	global_load_dwordx3 v[66:68], v57, s[12:13] offset:1344
	v_add_co_ci_u32_e64 v70, s1, s13, v70, s1
	v_lshlrev_b64 v[75:76], 2, v[40:41]
	v_mul_i32_i24_e32 v40, 3, v37
	v_add_co_u32 v72, s1, s12, v72
	global_load_dwordx3 v[69:71], v[69:70], off offset:1344
	v_add_co_ci_u32_e64 v73, s1, s13, v73, s1
	v_lshlrev_b64 v[78:79], 2, v[40:41]
	v_mul_i32_i24_e32 v40, 3, v36
	v_add_co_u32 v75, s1, s12, v75
	global_load_dwordx3 v[72:74], v[72:73], off offset:1344
	v_add_co_ci_u32_e64 v76, s1, s13, v76, s1
	v_lshlrev_b64 v[40:41], 2, v[40:41]
	v_add_co_u32 v78, s1, s12, v78
	global_load_dwordx3 v[75:77], v[75:76], off offset:1344
	v_add_co_ci_u32_e64 v79, s1, s13, v79, s1
	v_add_co_u32 v40, s1, s12, v40
	v_add_co_ci_u32_e64 v41, s1, s13, v41, s1
	global_load_dwordx3 v[78:80], v[78:79], off offset:1344
	v_add_nc_u32_e32 v46, v46, v58
	s_waitcnt lgkmcnt(6)
	v_lshrrev_b32_e32 v85, 16, v10
	global_load_dwordx3 v[81:83], v[40:41], off offset:1344
	v_add_nc_u32_e32 v41, v29, v56
	v_lshrrev_b32_e32 v40, 16, v65
	s_waitcnt lgkmcnt(4)
	v_lshrrev_b32_e32 v86, 16, v12
	v_lshrrev_b32_e32 v99, 16, v6
	;; [unrolled: 1-line block ×8, first 2 shown]
	s_waitcnt lgkmcnt(3)
	v_lshrrev_b32_e32 v94, 16, v4
	s_waitcnt lgkmcnt(1)
	v_lshrrev_b32_e32 v84, 16, v59
	v_lshrrev_b32_e32 v96, 16, v1
	;; [unrolled: 1-line block ×5, first 2 shown]
	s_waitcnt vmcnt(0) lgkmcnt(0)
	s_barrier
	buffer_gl0_inv
	v_lshrrev_b32_e32 v91, 16, v60
	v_lshrrev_b32_e32 v95, 16, v54
	v_mul_f16_sdwa v29, v66, v105 dst_sel:DWORD dst_unused:UNUSED_PAD src0_sel:WORD_1 src1_sel:DWORD
	v_mul_f16_sdwa v56, v66, v8 dst_sel:DWORD dst_unused:UNUSED_PAD src0_sel:WORD_1 src1_sel:DWORD
	;; [unrolled: 1-line block ×6, first 2 shown]
	v_fmac_f16_e32 v29, v66, v8
	v_fma_f16 v8, v66, v105, -v56
	v_fmac_f16_e32 v58, v67, v14
	v_fma_f16 v14, v67, v104, -v106
	v_fmac_f16_e32 v107, v68, v16
	v_fma_f16 v16, v68, v103, -v108
	v_mul_f16_sdwa v56, v69, v102 dst_sel:DWORD dst_unused:UNUSED_PAD src0_sel:WORD_1 src1_sel:DWORD
	v_mul_f16_sdwa v66, v69, v9 dst_sel:DWORD dst_unused:UNUSED_PAD src0_sel:WORD_1 src1_sel:DWORD
	;; [unrolled: 1-line block ×6, first 2 shown]
	v_sub_f16_e32 v58, v65, v58
	v_sub_f16_e32 v14, v40, v14
	;; [unrolled: 1-line block ×4, first 2 shown]
	v_fmac_f16_e32 v56, v69, v9
	v_fma_f16 v9, v69, v102, -v66
	v_fmac_f16_e32 v67, v70, v15
	v_fma_f16 v15, v70, v101, -v68
	;; [unrolled: 2-line block ×3, first 2 shown]
	v_mul_f16_sdwa v66, v72, v99 dst_sel:DWORD dst_unused:UNUSED_PAD src0_sel:WORD_1 src1_sel:DWORD
	v_mul_f16_sdwa v68, v72, v6 dst_sel:DWORD dst_unused:UNUSED_PAD src0_sel:WORD_1 src1_sel:DWORD
	v_mul_f16_sdwa v69, v85, v73 dst_sel:DWORD dst_unused:UNUSED_PAD src0_sel:DWORD src1_sel:WORD_1
	v_mul_f16_sdwa v70, v10, v73 dst_sel:DWORD dst_unused:UNUSED_PAD src0_sel:DWORD src1_sel:WORD_1
	;; [unrolled: 1-line block ×4, first 2 shown]
	v_fma_f16 v65, v65, 2.0, -v58
	v_fma_f16 v40, v40, 2.0, -v14
	;; [unrolled: 1-line block ×4, first 2 shown]
	v_add_f16_e32 v16, v58, v16
	v_sub_f16_e32 v101, v14, v105
	v_fmac_f16_e32 v66, v72, v6
	v_fma_f16 v6, v72, v99, -v68
	v_fmac_f16_e32 v69, v10, v73
	v_fma_f16 v10, v85, v73, -v70
	;; [unrolled: 2-line block ×3, first 2 shown]
	v_mul_f16_sdwa v68, v88, v75 dst_sel:DWORD dst_unused:UNUSED_PAD src0_sel:DWORD src1_sel:WORD_1
	v_mul_f16_sdwa v70, v7, v75 dst_sel:DWORD dst_unused:UNUSED_PAD src0_sel:DWORD src1_sel:WORD_1
	;; [unrolled: 1-line block ×6, first 2 shown]
	v_sub_f16_e32 v15, v57, v15
	v_sub_f16_e32 v17, v9, v17
	;; [unrolled: 1-line block ×6, first 2 shown]
	v_fma_f16 v58, v58, 2.0, -v16
	v_fma_f16 v14, v14, 2.0, -v101
	v_pack_b32_f16 v16, v16, v101
	v_fmac_f16_e32 v68, v7, v75
	v_fma_f16 v7, v88, v75, -v70
	v_fmac_f16_e32 v72, v11, v76
	v_fma_f16 v11, v89, v76, -v73
	;; [unrolled: 2-line block ×3, first 2 shown]
	v_mul_f16_sdwa v70, v92, v78 dst_sel:DWORD dst_unused:UNUSED_PAD src0_sel:DWORD src1_sel:WORD_1
	v_mul_f16_sdwa v73, v0, v78 dst_sel:DWORD dst_unused:UNUSED_PAD src0_sel:DWORD src1_sel:WORD_1
	;; [unrolled: 1-line block ×5, first 2 shown]
	v_fma_f16 v57, v57, 2.0, -v15
	v_fma_f16 v9, v9, 2.0, -v17
	v_sub_f16_e32 v69, v59, v69
	v_sub_f16_e32 v12, v6, v12
	v_mul_f16_sdwa v85, v4, v80 dst_sel:DWORD dst_unused:UNUSED_PAD src0_sel:DWORD src1_sel:WORD_1
	v_fma_f16 v64, v64, 2.0, -v67
	v_fma_f16 v56, v56, 2.0, -v86
	v_sub_f16_e32 v10, v84, v10
	v_sub_f16_e32 v71, v66, v71
	v_add_f16_e32 v17, v67, v17
	v_sub_f16_e32 v86, v15, v86
	v_fma_f16 v65, v65, 2.0, -v29
	v_fma_f16 v40, v40, 2.0, -v8
	v_pack_b32_f16 v14, v58, v14
	v_pack_b32_f16 v8, v29, v8
	ds_write_b32 v42, v16 offset:4056
	v_fmac_f16_e32 v70, v0, v78
	v_fma_f16 v0, v92, v78, -v73
	v_fmac_f16_e32 v75, v2, v79
	v_fma_f16 v2, v93, v79, -v76
	v_fmac_f16_e32 v77, v4, v80
	v_mul_f16_sdwa v16, v96, v81 dst_sel:DWORD dst_unused:UNUSED_PAD src0_sel:DWORD src1_sel:WORD_1
	v_mul_f16_sdwa v29, v1, v81 dst_sel:DWORD dst_unused:UNUSED_PAD src0_sel:DWORD src1_sel:WORD_1
	;; [unrolled: 1-line block ×6, first 2 shown]
	v_sub_f16_e32 v9, v57, v9
	v_fma_f16 v6, v6, 2.0, -v12
	v_add_f16_e32 v12, v69, v12
	v_fma_f16 v4, v94, v80, -v85
	v_sub_f16_e32 v56, v64, v56
	v_fma_f16 v59, v59, 2.0, -v69
	v_fma_f16 v79, v84, 2.0, -v10
	;; [unrolled: 1-line block ×3, first 2 shown]
	v_sub_f16_e32 v72, v61, v72
	v_sub_f16_e32 v11, v87, v11
	;; [unrolled: 1-line block ×4, first 2 shown]
	v_fma_f16 v67, v67, 2.0, -v17
	v_fma_f16 v15, v15, 2.0, -v86
	v_sub_f16_e32 v71, v10, v71
	ds_write_b32 v42, v14 offset:1352
	ds_write_b32 v42, v8 offset:2704
	v_fmac_f16_e32 v16, v1, v81
	v_fma_f16 v1, v96, v81, -v29
	v_fmac_f16_e32 v58, v3, v82
	v_fma_f16 v3, v97, v82, -v73
	;; [unrolled: 2-line block ×3, first 2 shown]
	v_fma_f16 v14, v57, 2.0, -v9
	v_fma_f16 v57, v69, 2.0, -v12
	v_sub_f16_e32 v69, v70, v77
	v_pack_b32_f16 v40, v65, v40
	v_fma_f16 v8, v64, 2.0, -v56
	v_sub_f16_e32 v29, v59, v66
	v_sub_f16_e32 v6, v79, v6
	v_fma_f16 v61, v61, 2.0, -v72
	v_fma_f16 v64, v87, 2.0, -v11
	;; [unrolled: 1-line block ×4, first 2 shown]
	v_sub_f16_e32 v68, v60, v75
	v_sub_f16_e32 v2, v91, v2
	;; [unrolled: 1-line block ×3, first 2 shown]
	v_pack_b32_f16 v17, v17, v86
	v_fma_f16 v10, v10, 2.0, -v71
	v_add_f16_e32 v13, v72, v13
	v_sub_f16_e32 v66, v11, v74
	v_pack_b32_f16 v15, v67, v15
	v_fma_f16 v67, v70, 2.0, -v69
	v_sub_f16_e32 v58, v54, v58
	v_sub_f16_e32 v3, v95, v3
	;; [unrolled: 1-line block ×4, first 2 shown]
	v_pack_b32_f16 v9, v56, v9
	ds_write_b32 v42, v40
	ds_write_b32 v55, v17 offset:4056
	v_fma_f16 v17, v59, 2.0, -v29
	v_fma_f16 v40, v79, 2.0, -v6
	v_sub_f16_e32 v56, v61, v65
	v_sub_f16_e32 v7, v64, v7
	v_fma_f16 v60, v60, 2.0, -v68
	v_fma_f16 v65, v91, 2.0, -v2
	;; [unrolled: 1-line block ×3, first 2 shown]
	v_pack_b32_f16 v8, v8, v14
	v_add_f16_e32 v4, v68, v4
	v_sub_f16_e32 v69, v2, v69
	v_fma_f16 v59, v72, 2.0, -v13
	v_fma_f16 v11, v11, 2.0, -v66
	ds_write_b32 v55, v15 offset:1352
	ds_write_b32 v55, v9 offset:2704
	v_pack_b32_f16 v9, v57, v10
	v_fma_f16 v54, v54, 2.0, -v58
	v_fma_f16 v57, v95, 2.0, -v3
	;; [unrolled: 1-line block ×4, first 2 shown]
	v_pack_b32_f16 v6, v29, v6
	v_pack_b32_f16 v12, v12, v71
	;; [unrolled: 1-line block ×3, first 2 shown]
	v_fma_f16 v13, v61, 2.0, -v56
	v_fma_f16 v14, v64, 2.0, -v7
	v_sub_f16_e32 v15, v60, v67
	v_sub_f16_e32 v0, v65, v0
	ds_write_b32 v55, v8
	v_pack_b32_f16 v8, v17, v40
	v_fma_f16 v29, v68, 2.0, -v4
	v_fma_f16 v2, v2, 2.0, -v69
	v_add_f16_e32 v5, v58, v5
	v_sub_f16_e32 v61, v3, v70
	ds_write_b32 v46, v9 offset:1352
	ds_write_b32 v46, v6 offset:2704
	;; [unrolled: 1-line block ×3, first 2 shown]
	v_pack_b32_f16 v6, v59, v11
	v_sub_f16_e32 v12, v54, v16
	v_sub_f16_e32 v1, v57, v1
	v_pack_b32_f16 v7, v56, v7
	v_fma_f16 v9, v60, 2.0, -v15
	v_fma_f16 v11, v65, 2.0, -v0
	ds_write_b32 v46, v8
	v_pack_b32_f16 v8, v13, v14
	v_fma_f16 v16, v58, 2.0, -v5
	v_fma_f16 v3, v3, 2.0, -v61
	v_pack_b32_f16 v2, v29, v2
	v_pack_b32_f16 v0, v15, v0
	ds_write_b32 v20, v6 offset:1352
	ds_write_b32 v20, v7 offset:2704
	;; [unrolled: 1-line block ×3, first 2 shown]
	v_fma_f16 v6, v54, 2.0, -v12
	v_fma_f16 v7, v57, 2.0, -v1
	v_pack_b32_f16 v4, v4, v69
	ds_write_b32 v20, v8
	v_pack_b32_f16 v8, v9, v11
	ds_write_b32 v41, v2 offset:1352
	ds_write_b32 v41, v0 offset:2704
	v_pack_b32_f16 v0, v16, v3
	v_pack_b32_f16 v1, v12, v1
	;; [unrolled: 1-line block ×4, first 2 shown]
	ds_write_b32 v41, v4 offset:4056
	ds_write_b32 v41, v8
	ds_write_b32 v19, v0 offset:1352
	ds_write_b32 v19, v1 offset:2704
	ds_write_b32 v19, v2
	ds_write_b32 v19, v5 offset:4056
	s_and_saveexec_b32 s1, s0
	s_cbranch_execz .LBB0_17
; %bb.16:
	v_mul_i32_i24_e32 v0, 3, v62
	v_mov_b32_e32 v1, 0
	v_lshlrev_b64 v[0:1], 2, v[0:1]
	v_add_co_u32 v0, s0, s12, v0
	v_add_co_ci_u32_e64 v1, s0, s13, v1, s0
	global_load_dwordx3 v[0:2], v[0:1], off offset:1344
	s_waitcnt vmcnt(0)
	v_mul_f16_sdwa v3, v51, v1 dst_sel:DWORD dst_unused:UNUSED_PAD src0_sel:DWORD src1_sel:WORD_1
	v_mul_f16_sdwa v4, v22, v0 dst_sel:DWORD dst_unused:UNUSED_PAD src0_sel:DWORD src1_sel:WORD_1
	;; [unrolled: 1-line block ×6, first 2 shown]
	v_fmac_f16_e32 v3, v50, v1
	v_fma_f16 v4, v63, v0, -v4
	v_fmac_f16_e32 v6, v22, v0
	v_fmac_f16_e32 v7, v52, v2
	v_fma_f16 v0, v51, v1, -v8
	v_fma_f16 v1, v53, v2, -v5
	v_sub_f16_e32 v2, v21, v3
	v_sub_f16_e32 v3, v6, v7
	;; [unrolled: 1-line block ×4, first 2 shown]
	v_fma_f16 v5, v21, 2.0, -v2
	v_fma_f16 v6, v6, 2.0, -v3
	;; [unrolled: 1-line block ×4, first 2 shown]
	v_add_f16_e32 v1, v2, v1
	v_sub_f16_e32 v3, v0, v3
	v_sub_f16_e32 v6, v5, v6
	;; [unrolled: 1-line block ×3, first 2 shown]
	v_fma_f16 v2, v2, 2.0, -v1
	v_fma_f16 v0, v0, 2.0, -v3
	;; [unrolled: 1-line block ×3, first 2 shown]
	v_pack_b32_f16 v1, v1, v3
	v_fma_f16 v7, v7, 2.0, -v4
	v_pack_b32_f16 v0, v2, v0
	v_pack_b32_f16 v2, v6, v4
	;; [unrolled: 1-line block ×3, first 2 shown]
	ds_write_b32 v42, v0 offset:2600
	ds_write_b32 v42, v2 offset:3952
	ds_write_b32 v42, v4 offset:1248
	ds_write_b32 v42, v1 offset:5304
.LBB0_17:
	s_or_b32 exec_lo, exec_lo, s1
	s_waitcnt lgkmcnt(0)
	s_barrier
	buffer_gl0_inv
	ds_read_b32 v9, v42
	v_sub_nc_u32_e32 v2, 0, v25
	s_add_u32 s1, s12, 0x1518
	s_addc_u32 s4, s13, 0
	s_mov_b32 s5, exec_lo
                                        ; implicit-def: $vgpr8
                                        ; implicit-def: $vgpr7
                                        ; implicit-def: $vgpr6
                                        ; implicit-def: $vgpr0_vgpr1
	v_cmpx_ne_u32_e32 0, v24
	s_xor_b32 s5, exec_lo, s5
	s_cbranch_execz .LBB0_19
; %bb.18:
	v_mov_b32_e32 v25, 0
	v_lshlrev_b64 v[0:1], 2, v[24:25]
	v_add_co_u32 v0, s0, s1, v0
	v_add_co_ci_u32_e64 v1, s0, s4, v1, s0
	global_load_dword v0, v[0:1], off
	ds_read_b32 v1, v2 offset:5408
	s_waitcnt lgkmcnt(0)
	v_sub_f16_e32 v3, v9, v1
	v_add_f16_sdwa v4, v1, v9 dst_sel:DWORD dst_unused:UNUSED_PAD src0_sel:WORD_1 src1_sel:WORD_1
	v_sub_f16_sdwa v5, v9, v1 dst_sel:DWORD dst_unused:UNUSED_PAD src0_sel:WORD_1 src1_sel:WORD_1
	v_add_f16_e32 v1, v1, v9
	v_mul_f16_e32 v3, 0.5, v3
	v_mul_f16_e32 v4, 0.5, v4
	;; [unrolled: 1-line block ×3, first 2 shown]
	s_waitcnt vmcnt(0)
	v_lshrrev_b32_e32 v6, 16, v0
	v_mul_f16_e32 v7, v6, v3
	v_fma_f16 v8, v4, v6, v5
	v_fma_f16 v5, v4, v6, -v5
	v_fma_f16 v9, 0.5, v1, v7
	v_fma_f16 v1, v1, 0.5, -v7
	v_fma_f16 v6, -v0, v3, v8
	v_fma_f16 v8, -v0, v3, v5
	v_fmac_f16_e32 v9, v0, v4
	v_fma_f16 v7, -v0, v4, v1
	v_mov_b32_e32 v0, v24
	v_mov_b32_e32 v1, v25
	ds_write_b16 v42, v9
                                        ; implicit-def: $vgpr9
.LBB0_19:
	s_or_saveexec_b32 s0, s5
	v_sub_nc_u32_e32 v5, 0, v49
	v_sub_nc_u32_e32 v4, 0, v47
	;; [unrolled: 1-line block ×3, first 2 shown]
	s_xor_b32 exec_lo, exec_lo, s0
	s_cbranch_execz .LBB0_21
; %bb.20:
	v_mov_b32_e32 v6, 0
	s_waitcnt lgkmcnt(0)
	v_add_f16_sdwa v10, v9, v9 dst_sel:DWORD dst_unused:UNUSED_PAD src0_sel:WORD_1 src1_sel:DWORD
	v_sub_f16_sdwa v7, v9, v9 dst_sel:DWORD dst_unused:UNUSED_PAD src0_sel:DWORD src1_sel:WORD_1
	v_mov_b32_e32 v8, 0
	ds_read_u16 v0, v6 offset:2706
	s_waitcnt lgkmcnt(0)
	v_xor_b32_e32 v9, 0x8000, v0
	v_mov_b32_e32 v0, 0
	v_mov_b32_e32 v1, 0
	ds_write_b16 v42, v10
	ds_write_b16 v6, v9 offset:2706
.LBB0_21:
	s_or_b32 exec_lo, exec_lo, s0
	v_mov_b32_e32 v29, 0
	v_lshlrev_b64 v[0:1], 2, v[0:1]
	v_add_nc_u32_e32 v5, v45, v5
	v_add_nc_u32_e32 v4, v44, v4
	;; [unrolled: 1-line block ×3, first 2 shown]
	s_waitcnt lgkmcnt(0)
	v_lshlrev_b64 v[9:10], 2, v[28:29]
	v_mov_b32_e32 v40, v29
	v_add_co_u32 v9, s0, s1, v9
	v_add_co_ci_u32_e64 v10, s0, s4, v10, s0
	global_load_dword v11, v[9:10], off
	v_lshlrev_b64 v[9:10], 2, v[39:40]
	v_mov_b32_e32 v39, v29
	v_add_co_u32 v9, s0, s1, v9
	v_add_co_ci_u32_e64 v10, s0, s4, v10, s0
	global_load_dword v12, v[9:10], off
	;; [unrolled: 5-line block ×5, first 2 shown]
	v_perm_b32 v10, v8, v7, 0x5040100
	v_lshlrev_b64 v[7:8], 2, v[35:36]
	ds_write_b16 v42, v6 offset:2
	ds_write_b32 v2, v10 offset:5408
	ds_read_b32 v10, v55
	ds_read_b32 v15, v2 offset:5200
	v_mov_b32_e32 v35, v29
	v_add_co_u32 v6, s0, s1, v7
	v_add_co_ci_u32_e64 v7, s0, s4, v8, s0
	v_add_co_u32 v0, s0, s1, v0
	v_add_co_ci_u32_e64 v1, s0, s4, v1, s0
	global_load_dword v8, v[6:7], off
	s_waitcnt lgkmcnt(0)
	v_pk_add_f16 v6, v10, v15 neg_lo:[0,1] neg_hi:[0,1]
	v_pk_add_f16 v7, v10, v15
	v_bfi_b32 v10, 0xffff, v6, v7
	v_bfi_b32 v6, 0xffff, v7, v6
	v_pk_mul_f16 v7, v10, 0.5 op_sel_hi:[1,0]
	v_pk_mul_f16 v6, v6, 0.5 op_sel_hi:[1,0]
	s_clause 0x1
	global_load_dword v10, v[0:1], off offset:1456
	global_load_dword v15, v[0:1], off offset:1872
	s_waitcnt vmcnt(7)
	v_pk_fma_f16 v16, v11, v7, v6 op_sel:[1,0,0]
	v_pk_mul_f16 v17, v11, v7 op_sel_hi:[0,1]
	v_pk_fma_f16 v21, v11, v7, v6 op_sel:[1,0,0] neg_lo:[1,0,0] neg_hi:[1,0,0]
	v_pk_fma_f16 v6, v11, v7, v6 op_sel:[1,0,0] neg_lo:[0,0,1] neg_hi:[0,0,1]
	v_pk_add_f16 v7, v16, v17 op_sel:[0,1] op_sel_hi:[1,0]
	v_pk_add_f16 v11, v16, v17 op_sel:[0,1] op_sel_hi:[1,0] neg_lo:[0,1] neg_hi:[0,1]
	v_pk_add_f16 v16, v21, v17 op_sel:[0,1] op_sel_hi:[1,0] neg_lo:[0,1] neg_hi:[0,1]
	;; [unrolled: 1-line block ×3, first 2 shown]
	v_bfi_b32 v7, 0xffff, v7, v11
	v_bfi_b32 v6, 0xffff, v16, v6
	ds_write_b32 v55, v7
	ds_write_b32 v2, v6 offset:5200
	ds_read_b32 v6, v46
	ds_read_b32 v7, v2 offset:4992
	s_waitcnt lgkmcnt(0)
	v_pk_add_f16 v11, v6, v7 neg_lo:[0,1] neg_hi:[0,1]
	v_pk_add_f16 v6, v6, v7
	v_bfi_b32 v7, 0xffff, v11, v6
	v_bfi_b32 v6, 0xffff, v6, v11
	v_pk_mul_f16 v7, v7, 0.5 op_sel_hi:[1,0]
	v_pk_mul_f16 v6, v6, 0.5 op_sel_hi:[1,0]
	s_waitcnt vmcnt(6)
	v_pk_mul_f16 v16, v12, v7 op_sel_hi:[0,1]
	v_pk_fma_f16 v11, v12, v7, v6 op_sel:[1,0,0]
	v_pk_fma_f16 v17, v12, v7, v6 op_sel:[1,0,0] neg_lo:[1,0,0] neg_hi:[1,0,0]
	v_pk_fma_f16 v6, v12, v7, v6 op_sel:[1,0,0] neg_lo:[0,0,1] neg_hi:[0,0,1]
	v_pk_add_f16 v7, v11, v16 op_sel:[0,1] op_sel_hi:[1,0]
	v_pk_add_f16 v11, v11, v16 op_sel:[0,1] op_sel_hi:[1,0] neg_lo:[0,1] neg_hi:[0,1]
	v_pk_add_f16 v12, v17, v16 op_sel:[0,1] op_sel_hi:[1,0] neg_lo:[0,1] neg_hi:[0,1]
	;; [unrolled: 1-line block ×3, first 2 shown]
	v_bfi_b32 v11, 0xffff, v7, v11
	v_bfi_b32 v12, 0xffff, v12, v6
	v_lshlrev_b64 v[6:7], 2, v[34:35]
	ds_write_b32 v46, v11
	ds_write_b32 v2, v12 offset:4992
	ds_read_b32 v11, v20
	ds_read_b32 v12, v2 offset:4784
	v_mov_b32_e32 v34, v29
	v_add_co_u32 v6, s0, s1, v6
	v_add_co_ci_u32_e64 v7, s0, s4, v7, s0
	global_load_dword v16, v[6:7], off
	s_waitcnt lgkmcnt(0)
	v_pk_add_f16 v6, v11, v12 neg_lo:[0,1] neg_hi:[0,1]
	v_pk_add_f16 v7, v11, v12
	v_bfi_b32 v11, 0xffff, v6, v7
	v_bfi_b32 v6, 0xffff, v7, v6
	v_pk_mul_f16 v7, v11, 0.5 op_sel_hi:[1,0]
	v_pk_mul_f16 v6, v6, 0.5 op_sel_hi:[1,0]
	s_waitcnt vmcnt(6)
	v_pk_mul_f16 v12, v13, v7 op_sel_hi:[0,1]
	v_pk_fma_f16 v11, v13, v7, v6 op_sel:[1,0,0]
	v_pk_fma_f16 v17, v13, v7, v6 op_sel:[1,0,0] neg_lo:[1,0,0] neg_hi:[1,0,0]
	v_pk_fma_f16 v6, v13, v7, v6 op_sel:[1,0,0] neg_lo:[0,0,1] neg_hi:[0,0,1]
	v_pk_add_f16 v7, v11, v12 op_sel:[0,1] op_sel_hi:[1,0]
	v_pk_add_f16 v11, v11, v12 op_sel:[0,1] op_sel_hi:[1,0] neg_lo:[0,1] neg_hi:[0,1]
	v_pk_add_f16 v13, v17, v12 op_sel:[0,1] op_sel_hi:[1,0] neg_lo:[0,1] neg_hi:[0,1]
	;; [unrolled: 1-line block ×3, first 2 shown]
	v_bfi_b32 v7, 0xffff, v7, v11
	v_bfi_b32 v6, 0xffff, v13, v6
	ds_write_b32 v20, v7
	ds_write_b32 v2, v6 offset:4784
	ds_read_b32 v6, v41
	ds_read_b32 v7, v2 offset:4576
	s_waitcnt lgkmcnt(0)
	v_pk_add_f16 v11, v6, v7 neg_lo:[0,1] neg_hi:[0,1]
	v_pk_add_f16 v6, v6, v7
	v_bfi_b32 v7, 0xffff, v11, v6
	v_bfi_b32 v6, 0xffff, v6, v11
	v_pk_mul_f16 v7, v7, 0.5 op_sel_hi:[1,0]
	v_pk_mul_f16 v6, v6, 0.5 op_sel_hi:[1,0]
	s_waitcnt vmcnt(5)
	v_pk_mul_f16 v12, v14, v7 op_sel_hi:[0,1]
	v_pk_fma_f16 v11, v14, v7, v6 op_sel:[1,0,0]
	v_pk_fma_f16 v13, v14, v7, v6 op_sel:[1,0,0] neg_lo:[1,0,0] neg_hi:[1,0,0]
	v_pk_fma_f16 v6, v14, v7, v6 op_sel:[1,0,0] neg_lo:[0,0,1] neg_hi:[0,0,1]
	v_pk_add_f16 v7, v11, v12 op_sel:[0,1] op_sel_hi:[1,0]
	v_pk_add_f16 v11, v11, v12 op_sel:[0,1] op_sel_hi:[1,0] neg_lo:[0,1] neg_hi:[0,1]
	v_pk_add_f16 v13, v13, v12 op_sel:[0,1] op_sel_hi:[1,0] neg_lo:[0,1] neg_hi:[0,1]
	;; [unrolled: 1-line block ×3, first 2 shown]
	v_bfi_b32 v11, 0xffff, v7, v11
	v_bfi_b32 v12, 0xffff, v13, v6
	v_lshlrev_b64 v[6:7], 2, v[33:34]
	ds_write_b32 v41, v11
	ds_write_b32 v2, v12 offset:4576
	ds_read_b32 v11, v19
	ds_read_b32 v12, v2 offset:4368
	v_mov_b32_e32 v33, v29
	v_add_co_u32 v6, s0, s1, v6
	v_add_co_ci_u32_e64 v7, s0, s4, v7, s0
	v_add_co_u32 v0, s0, 0x800, v0
	v_add_co_ci_u32_e64 v1, s0, 0, v1, s0
	global_load_dword v6, v[6:7], off
	s_waitcnt lgkmcnt(0)
	v_pk_add_f16 v7, v11, v12 neg_lo:[0,1] neg_hi:[0,1]
	v_pk_add_f16 v11, v11, v12
	v_bfi_b32 v12, 0xffff, v7, v11
	v_bfi_b32 v7, 0xffff, v11, v7
	v_pk_mul_f16 v11, v12, 0.5 op_sel_hi:[1,0]
	v_pk_mul_f16 v7, v7, 0.5 op_sel_hi:[1,0]
	s_waitcnt vmcnt(5)
	v_pk_mul_f16 v13, v9, v11 op_sel_hi:[0,1]
	v_pk_fma_f16 v12, v9, v11, v7 op_sel:[1,0,0]
	v_pk_fma_f16 v14, v9, v11, v7 op_sel:[1,0,0] neg_lo:[1,0,0] neg_hi:[1,0,0]
	v_pk_fma_f16 v7, v9, v11, v7 op_sel:[1,0,0] neg_lo:[0,0,1] neg_hi:[0,0,1]
	v_pk_add_f16 v9, v12, v13 op_sel:[0,1] op_sel_hi:[1,0]
	v_pk_add_f16 v11, v12, v13 op_sel:[0,1] op_sel_hi:[1,0] neg_lo:[0,1] neg_hi:[0,1]
	v_pk_add_f16 v12, v14, v13 op_sel:[0,1] op_sel_hi:[1,0] neg_lo:[0,1] neg_hi:[0,1]
	;; [unrolled: 1-line block ×3, first 2 shown]
	v_bfi_b32 v9, 0xffff, v9, v11
	v_bfi_b32 v7, 0xffff, v12, v7
	ds_write_b32 v19, v9
	ds_write_b32 v2, v7 offset:4368
	ds_read_b32 v7, v18
	ds_read_b32 v9, v2 offset:4160
	global_load_dword v11, v[0:1], off offset:240
	s_waitcnt lgkmcnt(0)
	v_pk_add_f16 v0, v7, v9 neg_lo:[0,1] neg_hi:[0,1]
	v_pk_add_f16 v1, v7, v9
	v_bfi_b32 v7, 0xffff, v0, v1
	v_bfi_b32 v0, 0xffff, v1, v0
	v_pk_mul_f16 v1, v7, 0.5 op_sel_hi:[1,0]
	v_pk_mul_f16 v0, v0, 0.5 op_sel_hi:[1,0]
	s_waitcnt vmcnt(5)
	v_pk_mul_f16 v9, v8, v1 op_sel_hi:[0,1]
	v_pk_fma_f16 v7, v8, v1, v0 op_sel:[1,0,0]
	v_pk_fma_f16 v12, v8, v1, v0 op_sel:[1,0,0] neg_lo:[1,0,0] neg_hi:[1,0,0]
	v_pk_fma_f16 v0, v8, v1, v0 op_sel:[1,0,0] neg_lo:[0,0,1] neg_hi:[0,0,1]
	v_pk_add_f16 v1, v7, v9 op_sel:[0,1] op_sel_hi:[1,0]
	v_pk_add_f16 v7, v7, v9 op_sel:[0,1] op_sel_hi:[1,0] neg_lo:[0,1] neg_hi:[0,1]
	v_pk_add_f16 v8, v12, v9 op_sel:[0,1] op_sel_hi:[1,0] neg_lo:[0,1] neg_hi:[0,1]
	;; [unrolled: 1-line block ×3, first 2 shown]
	v_bfi_b32 v7, 0xffff, v1, v7
	v_bfi_b32 v8, 0xffff, v8, v0
	v_lshlrev_b64 v[0:1], 2, v[32:33]
	ds_write_b32 v18, v7
	ds_write_b32 v2, v8 offset:4160
	ds_read_b32 v7, v42 offset:1456
	ds_read_b32 v8, v2 offset:3952
	v_add_co_u32 v0, s0, s1, v0
	v_add_co_ci_u32_e64 v1, s0, s4, v1, s0
	global_load_dword v0, v[0:1], off
	s_waitcnt lgkmcnt(0)
	v_pk_add_f16 v1, v7, v8 neg_lo:[0,1] neg_hi:[0,1]
	v_pk_add_f16 v7, v7, v8
	v_bfi_b32 v8, 0xffff, v1, v7
	v_bfi_b32 v1, 0xffff, v7, v1
	v_pk_mul_f16 v7, v8, 0.5 op_sel_hi:[1,0]
	v_pk_mul_f16 v1, v1, 0.5 op_sel_hi:[1,0]
	s_waitcnt vmcnt(5)
	v_pk_mul_f16 v9, v10, v7 op_sel_hi:[0,1]
	v_pk_fma_f16 v8, v10, v7, v1 op_sel:[1,0,0]
	v_pk_fma_f16 v12, v10, v7, v1 op_sel:[1,0,0] neg_lo:[1,0,0] neg_hi:[1,0,0]
	v_pk_fma_f16 v1, v10, v7, v1 op_sel:[1,0,0] neg_lo:[0,0,1] neg_hi:[0,0,1]
	v_pk_add_f16 v7, v8, v9 op_sel:[0,1] op_sel_hi:[1,0]
	v_pk_add_f16 v8, v8, v9 op_sel:[0,1] op_sel_hi:[1,0] neg_lo:[0,1] neg_hi:[0,1]
	v_pk_add_f16 v10, v12, v9 op_sel:[0,1] op_sel_hi:[1,0] neg_lo:[0,1] neg_hi:[0,1]
	;; [unrolled: 1-line block ×3, first 2 shown]
	v_bfi_b32 v7, 0xffff, v7, v8
	v_bfi_b32 v1, 0xffff, v10, v1
	ds_write_b32 v42, v7 offset:1456
	ds_write_b32 v2, v1 offset:3952
	ds_read_b32 v1, v5
	ds_read_b32 v7, v2 offset:3744
	s_waitcnt lgkmcnt(0)
	v_pk_add_f16 v8, v1, v7 neg_lo:[0,1] neg_hi:[0,1]
	v_pk_add_f16 v1, v1, v7
	v_bfi_b32 v7, 0xffff, v8, v1
	v_bfi_b32 v1, 0xffff, v1, v8
	v_pk_mul_f16 v7, v7, 0.5 op_sel_hi:[1,0]
	v_pk_mul_f16 v1, v1, 0.5 op_sel_hi:[1,0]
	s_waitcnt vmcnt(3)
	v_pk_fma_f16 v8, v16, v7, v1 op_sel:[1,0,0]
	v_pk_mul_f16 v9, v16, v7 op_sel_hi:[0,1]
	v_pk_fma_f16 v10, v16, v7, v1 op_sel:[1,0,0] neg_lo:[1,0,0] neg_hi:[1,0,0]
	v_pk_fma_f16 v1, v16, v7, v1 op_sel:[1,0,0] neg_lo:[0,0,1] neg_hi:[0,0,1]
	v_pk_add_f16 v7, v8, v9 op_sel:[0,1] op_sel_hi:[1,0]
	v_pk_add_f16 v8, v8, v9 op_sel:[0,1] op_sel_hi:[1,0] neg_lo:[0,1] neg_hi:[0,1]
	v_pk_add_f16 v10, v10, v9 op_sel:[0,1] op_sel_hi:[1,0] neg_lo:[0,1] neg_hi:[0,1]
	v_pk_add_f16 v1, v1, v9 op_sel:[0,1] op_sel_hi:[1,0] neg_lo:[0,1] neg_hi:[0,1]
	v_bfi_b32 v7, 0xffff, v7, v8
	v_bfi_b32 v1, 0xffff, v10, v1
	ds_write_b32 v5, v7
	ds_write_b32 v2, v1 offset:3744
	ds_read_b32 v1, v42 offset:1872
	ds_read_b32 v5, v2 offset:3536
	s_waitcnt lgkmcnt(0)
	v_pk_add_f16 v7, v1, v5 neg_lo:[0,1] neg_hi:[0,1]
	v_pk_add_f16 v1, v1, v5
	v_bfi_b32 v5, 0xffff, v7, v1
	v_bfi_b32 v1, 0xffff, v1, v7
	v_pk_mul_f16 v5, v5, 0.5 op_sel_hi:[1,0]
	v_pk_mul_f16 v1, v1, 0.5 op_sel_hi:[1,0]
	v_pk_mul_f16 v8, v15, v5 op_sel_hi:[0,1]
	v_pk_fma_f16 v7, v15, v5, v1 op_sel:[1,0,0]
	v_pk_fma_f16 v9, v15, v5, v1 op_sel:[1,0,0] neg_lo:[1,0,0] neg_hi:[1,0,0]
	v_pk_fma_f16 v1, v15, v5, v1 op_sel:[1,0,0] neg_lo:[0,0,1] neg_hi:[0,0,1]
	v_pk_add_f16 v5, v7, v8 op_sel:[0,1] op_sel_hi:[1,0]
	v_pk_add_f16 v7, v7, v8 op_sel:[0,1] op_sel_hi:[1,0] neg_lo:[0,1] neg_hi:[0,1]
	v_pk_add_f16 v9, v9, v8 op_sel:[0,1] op_sel_hi:[1,0] neg_lo:[0,1] neg_hi:[0,1]
	;; [unrolled: 1-line block ×3, first 2 shown]
	v_bfi_b32 v5, 0xffff, v5, v7
	v_bfi_b32 v1, 0xffff, v9, v1
	ds_write_b32 v42, v5 offset:1872
	ds_write_b32 v2, v1 offset:3536
	ds_read_b32 v1, v4
	ds_read_b32 v5, v2 offset:3328
	s_waitcnt lgkmcnt(0)
	v_pk_add_f16 v7, v1, v5 neg_lo:[0,1] neg_hi:[0,1]
	v_pk_add_f16 v1, v1, v5
	v_bfi_b32 v5, 0xffff, v7, v1
	v_bfi_b32 v1, 0xffff, v1, v7
	v_pk_mul_f16 v5, v5, 0.5 op_sel_hi:[1,0]
	v_pk_mul_f16 v1, v1, 0.5 op_sel_hi:[1,0]
	s_waitcnt vmcnt(2)
	v_pk_fma_f16 v7, v6, v5, v1 op_sel:[1,0,0]
	v_pk_mul_f16 v8, v6, v5 op_sel_hi:[0,1]
	v_pk_fma_f16 v9, v6, v5, v1 op_sel:[1,0,0] neg_lo:[1,0,0] neg_hi:[1,0,0]
	v_pk_fma_f16 v1, v6, v5, v1 op_sel:[1,0,0] neg_lo:[0,0,1] neg_hi:[0,0,1]
	v_pk_add_f16 v5, v7, v8 op_sel:[0,1] op_sel_hi:[1,0]
	v_pk_add_f16 v6, v7, v8 op_sel:[0,1] op_sel_hi:[1,0] neg_lo:[0,1] neg_hi:[0,1]
	v_pk_add_f16 v7, v9, v8 op_sel:[0,1] op_sel_hi:[1,0] neg_lo:[0,1] neg_hi:[0,1]
	;; [unrolled: 1-line block ×3, first 2 shown]
	v_bfi_b32 v5, 0xffff, v5, v6
	v_bfi_b32 v1, 0xffff, v7, v1
	ds_write_b32 v4, v5
	ds_write_b32 v2, v1 offset:3328
	ds_read_b32 v1, v42 offset:2288
	ds_read_b32 v4, v2 offset:3120
	s_waitcnt lgkmcnt(0)
	v_pk_add_f16 v5, v1, v4 neg_lo:[0,1] neg_hi:[0,1]
	v_pk_add_f16 v1, v1, v4
	v_bfi_b32 v4, 0xffff, v5, v1
	v_bfi_b32 v1, 0xffff, v1, v5
	v_pk_mul_f16 v4, v4, 0.5 op_sel_hi:[1,0]
	v_pk_mul_f16 v1, v1, 0.5 op_sel_hi:[1,0]
	s_waitcnt vmcnt(1)
	v_pk_mul_f16 v6, v11, v4 op_sel_hi:[0,1]
	v_pk_fma_f16 v5, v11, v4, v1 op_sel:[1,0,0]
	v_pk_fma_f16 v7, v11, v4, v1 op_sel:[1,0,0] neg_lo:[1,0,0] neg_hi:[1,0,0]
	v_pk_fma_f16 v1, v11, v4, v1 op_sel:[1,0,0] neg_lo:[0,0,1] neg_hi:[0,0,1]
	v_pk_add_f16 v4, v5, v6 op_sel:[0,1] op_sel_hi:[1,0]
	v_pk_add_f16 v5, v5, v6 op_sel:[0,1] op_sel_hi:[1,0] neg_lo:[0,1] neg_hi:[0,1]
	v_pk_add_f16 v7, v7, v6 op_sel:[0,1] op_sel_hi:[1,0] neg_lo:[0,1] neg_hi:[0,1]
	;; [unrolled: 1-line block ×3, first 2 shown]
	v_bfi_b32 v4, 0xffff, v4, v5
	v_bfi_b32 v1, 0xffff, v7, v1
	ds_write_b32 v42, v4 offset:2288
	ds_write_b32 v2, v1 offset:3120
	ds_read_b32 v1, v3
	ds_read_b32 v4, v2 offset:2912
	s_waitcnt lgkmcnt(0)
	v_pk_add_f16 v5, v1, v4 neg_lo:[0,1] neg_hi:[0,1]
	v_pk_add_f16 v1, v1, v4
	v_bfi_b32 v4, 0xffff, v5, v1
	v_bfi_b32 v1, 0xffff, v1, v5
	v_pk_mul_f16 v4, v4, 0.5 op_sel_hi:[1,0]
	v_pk_mul_f16 v1, v1, 0.5 op_sel_hi:[1,0]
	s_waitcnt vmcnt(0)
	v_pk_mul_f16 v6, v0, v4 op_sel_hi:[0,1]
	v_pk_fma_f16 v5, v0, v4, v1 op_sel:[1,0,0]
	v_pk_fma_f16 v7, v0, v4, v1 op_sel:[1,0,0] neg_lo:[1,0,0] neg_hi:[1,0,0]
	v_pk_fma_f16 v0, v0, v4, v1 op_sel:[1,0,0] neg_lo:[0,0,1] neg_hi:[0,0,1]
	v_pk_add_f16 v1, v5, v6 op_sel:[0,1] op_sel_hi:[1,0]
	v_pk_add_f16 v4, v5, v6 op_sel:[0,1] op_sel_hi:[1,0] neg_lo:[0,1] neg_hi:[0,1]
	v_pk_add_f16 v5, v7, v6 op_sel:[0,1] op_sel_hi:[1,0] neg_lo:[0,1] neg_hi:[0,1]
	;; [unrolled: 1-line block ×3, first 2 shown]
	v_bfi_b32 v1, 0xffff, v1, v4
	v_bfi_b32 v0, 0xffff, v5, v0
	ds_write_b32 v3, v1
	ds_write_b32 v2, v0 offset:2912
	s_waitcnt lgkmcnt(0)
	s_barrier
	buffer_gl0_inv
	s_and_saveexec_b32 s0, vcc_lo
	s_cbranch_execz .LBB0_24
; %bb.22:
	v_mul_lo_u32 v2, s3, v30
	v_mul_lo_u32 v3, s2, v31
	v_mad_u64_u32 v[0:1], null, s2, v30, 0
	v_lshl_add_u32 v18, v24, 2, 0
	v_mov_b32_e32 v25, v29
	v_add_nc_u32_e32 v28, 52, v24
	ds_read2_b32 v[4:5], v18 offset1:52
	v_add3_u32 v1, v1, v3, v2
	v_lshlrev_b64 v[2:3], 2, v[26:27]
	v_lshlrev_b64 v[6:7], 2, v[24:25]
	;; [unrolled: 1-line block ×3, first 2 shown]
	v_add_nc_u32_e32 v28, 0x68, v24
	v_lshlrev_b64 v[0:1], 2, v[0:1]
	v_add_nc_u32_e32 v14, 0x400, v18
	v_add_nc_u32_e32 v19, 0x1000, v18
	v_lshlrev_b64 v[10:11], 2, v[28:29]
	v_add_nc_u32_e32 v28, 0x9c, v24
	v_add_co_u32 v0, vcc_lo, s10, v0
	v_add_co_ci_u32_e32 v1, vcc_lo, s11, v1, vcc_lo
	v_add_co_u32 v0, vcc_lo, v0, v2
	v_add_co_ci_u32_e32 v1, vcc_lo, v1, v3, vcc_lo
	v_add_co_u32 v2, vcc_lo, v0, v6
	v_add_co_ci_u32_e32 v3, vcc_lo, v1, v7, vcc_lo
	v_add_co_u32 v6, vcc_lo, v0, v8
	v_add_co_ci_u32_e32 v7, vcc_lo, v1, v9, vcc_lo
	ds_read2_b32 v[8:9], v18 offset0:104 offset1:156
	s_waitcnt lgkmcnt(1)
	global_store_dword v[2:3], v4, off
	global_store_dword v[6:7], v5, off
	v_lshlrev_b64 v[2:3], 2, v[28:29]
	v_add_co_u32 v4, vcc_lo, v0, v10
	v_add_co_ci_u32_e32 v5, vcc_lo, v1, v11, vcc_lo
	v_add_nc_u32_e32 v28, 0xd0, v24
	v_add_co_u32 v2, vcc_lo, v0, v2
	v_add_co_ci_u32_e32 v3, vcc_lo, v1, v3, vcc_lo
	v_add_nc_u32_e32 v10, 0x200, v18
	v_lshlrev_b64 v[6:7], 2, v[28:29]
	v_add_nc_u32_e32 v28, 0x104, v24
	s_waitcnt lgkmcnt(0)
	global_store_dword v[4:5], v8, off
	global_store_dword v[2:3], v9, off
	ds_read2_b32 v[2:3], v10 offset0:80 offset1:132
	ds_read2_b32 v[8:9], v14 offset0:56 offset1:108
	v_lshlrev_b64 v[4:5], 2, v[28:29]
	v_add_nc_u32_e32 v28, 0x138, v24
	v_add_co_u32 v6, vcc_lo, v0, v6
	v_add_co_ci_u32_e32 v7, vcc_lo, v1, v7, vcc_lo
	v_lshlrev_b64 v[10:11], 2, v[28:29]
	v_add_co_u32 v4, vcc_lo, v0, v4
	v_add_co_ci_u32_e32 v5, vcc_lo, v1, v5, vcc_lo
	v_add_nc_u32_e32 v28, 0x16c, v24
	v_add_co_u32 v10, vcc_lo, v0, v10
	v_add_co_ci_u32_e32 v11, vcc_lo, v1, v11, vcc_lo
	v_lshlrev_b64 v[12:13], 2, v[28:29]
	v_add_nc_u32_e32 v28, 0x1a0, v24
	s_waitcnt lgkmcnt(1)
	global_store_dword v[6:7], v2, off
	global_store_dword v[4:5], v3, off
	s_waitcnt lgkmcnt(0)
	global_store_dword v[10:11], v8, off
	ds_read2_b32 v[2:3], v14 offset0:160 offset1:212
	v_add_nc_u32_e32 v8, 0x800, v18
	v_add_nc_u32_e32 v14, 0xa00, v18
	v_lshlrev_b64 v[4:5], 2, v[28:29]
	v_add_nc_u32_e32 v28, 0x1d4, v24
	v_add_co_u32 v6, vcc_lo, v0, v12
	v_add_co_ci_u32_e32 v7, vcc_lo, v1, v13, vcc_lo
	v_lshlrev_b64 v[10:11], 2, v[28:29]
	v_add_co_u32 v4, vcc_lo, v0, v4
	v_add_co_ci_u32_e32 v5, vcc_lo, v1, v5, vcc_lo
	v_add_nc_u32_e32 v28, 0x208, v24
	v_add_co_u32 v10, vcc_lo, v0, v10
	v_add_co_ci_u32_e32 v11, vcc_lo, v1, v11, vcc_lo
	v_lshlrev_b64 v[12:13], 2, v[28:29]
	v_add_nc_u32_e32 v28, 0x23c, v24
	global_store_dword v[6:7], v9, off
	s_waitcnt lgkmcnt(0)
	global_store_dword v[4:5], v2, off
	global_store_dword v[10:11], v3, off
	ds_read2_b32 v[2:3], v8 offset0:8 offset1:60
	ds_read2_b32 v[6:7], v8 offset0:112 offset1:164
	v_lshlrev_b64 v[4:5], 2, v[28:29]
	v_add_nc_u32_e32 v28, 0x270, v24
	v_add_co_u32 v8, vcc_lo, v0, v12
	v_add_co_ci_u32_e32 v9, vcc_lo, v1, v13, vcc_lo
	v_lshlrev_b64 v[10:11], 2, v[28:29]
	v_add_co_u32 v4, vcc_lo, v0, v4
	v_add_co_ci_u32_e32 v5, vcc_lo, v1, v5, vcc_lo
	v_add_nc_u32_e32 v28, 0x2a4, v24
	v_add_co_u32 v10, vcc_lo, v0, v10
	v_add_co_ci_u32_e32 v11, vcc_lo, v1, v11, vcc_lo
	v_lshlrev_b64 v[12:13], 2, v[28:29]
	v_add_nc_u32_e32 v28, 0x2d8, v24
	s_waitcnt lgkmcnt(1)
	global_store_dword v[8:9], v2, off
	global_store_dword v[4:5], v3, off
	s_waitcnt lgkmcnt(0)
	global_store_dword v[10:11], v6, off
	ds_read2_b32 v[2:3], v14 offset0:88 offset1:140
	v_add_nc_u32_e32 v14, 0xc00, v18
	v_lshlrev_b64 v[4:5], 2, v[28:29]
	v_add_nc_u32_e32 v28, 0x30c, v24
	v_add_co_u32 v8, vcc_lo, v0, v12
	v_add_co_ci_u32_e32 v9, vcc_lo, v1, v13, vcc_lo
	v_lshlrev_b64 v[10:11], 2, v[28:29]
	v_add_nc_u32_e32 v28, 0x340, v24
	v_add_co_u32 v4, vcc_lo, v0, v4
	v_add_co_ci_u32_e32 v5, vcc_lo, v1, v5, vcc_lo
	v_add_co_u32 v10, vcc_lo, v0, v10
	v_lshlrev_b64 v[12:13], 2, v[28:29]
	v_add_nc_u32_e32 v28, 0x374, v24
	v_add_co_ci_u32_e32 v11, vcc_lo, v1, v11, vcc_lo
	global_store_dword v[8:9], v7, off
	s_waitcnt lgkmcnt(0)
	global_store_dword v[4:5], v2, off
	global_store_dword v[10:11], v3, off
	ds_read2_b32 v[2:3], v14 offset0:64 offset1:116
	v_lshlrev_b64 v[4:5], 2, v[28:29]
	v_add_nc_u32_e32 v28, 0x3a8, v24
	ds_read2_b32 v[8:9], v14 offset0:168 offset1:220
	v_add_co_u32 v6, vcc_lo, v0, v12
	v_add_co_ci_u32_e32 v7, vcc_lo, v1, v13, vcc_lo
	v_lshlrev_b64 v[10:11], 2, v[28:29]
	v_add_nc_u32_e32 v28, 0x3dc, v24
	v_add_co_u32 v4, vcc_lo, v0, v4
	ds_read2_b32 v[14:15], v19 offset0:16 offset1:68
	v_add_co_ci_u32_e32 v5, vcc_lo, v1, v5, vcc_lo
	v_lshlrev_b64 v[12:13], 2, v[28:29]
	v_add_nc_u32_e32 v28, 0x410, v24
	v_add_co_u32 v10, vcc_lo, v0, v10
	v_add_co_ci_u32_e32 v11, vcc_lo, v1, v11, vcc_lo
	v_lshlrev_b64 v[16:17], 2, v[28:29]
	v_add_nc_u32_e32 v28, 0x444, v24
	v_add_co_u32 v12, vcc_lo, v0, v12
	v_add_co_ci_u32_e32 v13, vcc_lo, v1, v13, vcc_lo
	s_waitcnt lgkmcnt(2)
	global_store_dword v[6:7], v2, off
	global_store_dword v[4:5], v3, off
	s_waitcnt lgkmcnt(1)
	global_store_dword v[10:11], v8, off
	global_store_dword v[12:13], v9, off
	v_lshlrev_b64 v[2:3], 2, v[28:29]
	v_add_nc_u32_e32 v28, 0x478, v24
	v_add_co_u32 v4, vcc_lo, v0, v16
	v_add_co_ci_u32_e32 v5, vcc_lo, v1, v17, vcc_lo
	v_lshlrev_b64 v[6:7], 2, v[28:29]
	v_add_nc_u32_e32 v28, 0x4ac, v24
	v_add_co_u32 v2, vcc_lo, v0, v2
	v_add_co_ci_u32_e32 v3, vcc_lo, v1, v3, vcc_lo
	s_waitcnt lgkmcnt(0)
	global_store_dword v[4:5], v14, off
	v_lshlrev_b64 v[4:5], 2, v[28:29]
	v_add_nc_u32_e32 v28, 0x4e0, v24
	v_add_nc_u32_e32 v8, 0x1200, v18
	global_store_dword v[2:3], v15, off
	ds_read2_b32 v[2:3], v19 offset0:120 offset1:172
	v_add_co_u32 v6, vcc_lo, v0, v6
	v_lshlrev_b64 v[10:11], 2, v[28:29]
	v_add_nc_u32_e32 v28, 0x514, v24
	ds_read2_b32 v[8:9], v8 offset0:96 offset1:148
	v_add_co_ci_u32_e32 v7, vcc_lo, v1, v7, vcc_lo
	v_add_co_u32 v4, vcc_lo, v0, v4
	v_lshlrev_b64 v[12:13], 2, v[28:29]
	v_add_co_ci_u32_e32 v5, vcc_lo, v1, v5, vcc_lo
	v_add_co_u32 v10, vcc_lo, v0, v10
	v_add_co_ci_u32_e32 v11, vcc_lo, v1, v11, vcc_lo
	v_add_co_u32 v12, vcc_lo, v0, v12
	v_add_co_ci_u32_e32 v13, vcc_lo, v1, v13, vcc_lo
	v_cmp_eq_u32_e32 vcc_lo, 51, v24
	s_waitcnt lgkmcnt(1)
	global_store_dword v[6:7], v2, off
	global_store_dword v[4:5], v3, off
	s_waitcnt lgkmcnt(0)
	global_store_dword v[10:11], v8, off
	global_store_dword v[12:13], v9, off
	s_and_b32 exec_lo, exec_lo, vcc_lo
	s_cbranch_execz .LBB0_24
; %bb.23:
	v_mov_b32_e32 v2, 0
	v_add_co_u32 v0, vcc_lo, 0x1000, v0
	v_add_co_ci_u32_e32 v1, vcc_lo, 0, v1, vcc_lo
	ds_read_b32 v2, v2 offset:5408
	s_waitcnt lgkmcnt(0)
	global_store_dword v[0:1], v2, off offset:1312
.LBB0_24:
	s_endpgm
	.section	.rodata,"a",@progbits
	.p2align	6, 0x0
	.amdhsa_kernel fft_rtc_back_len1352_factors_2_13_13_4_wgs_52_tpt_52_halfLds_half_op_CI_CI_unitstride_sbrr_R2C_dirReg
		.amdhsa_group_segment_fixed_size 0
		.amdhsa_private_segment_fixed_size 0
		.amdhsa_kernarg_size 104
		.amdhsa_user_sgpr_count 6
		.amdhsa_user_sgpr_private_segment_buffer 1
		.amdhsa_user_sgpr_dispatch_ptr 0
		.amdhsa_user_sgpr_queue_ptr 0
		.amdhsa_user_sgpr_kernarg_segment_ptr 1
		.amdhsa_user_sgpr_dispatch_id 0
		.amdhsa_user_sgpr_flat_scratch_init 0
		.amdhsa_user_sgpr_private_segment_size 0
		.amdhsa_wavefront_size32 1
		.amdhsa_uses_dynamic_stack 0
		.amdhsa_system_sgpr_private_segment_wavefront_offset 0
		.amdhsa_system_sgpr_workgroup_id_x 1
		.amdhsa_system_sgpr_workgroup_id_y 0
		.amdhsa_system_sgpr_workgroup_id_z 0
		.amdhsa_system_sgpr_workgroup_info 0
		.amdhsa_system_vgpr_workitem_id 0
		.amdhsa_next_free_vgpr 160
		.amdhsa_next_free_sgpr 27
		.amdhsa_reserve_vcc 1
		.amdhsa_reserve_flat_scratch 0
		.amdhsa_float_round_mode_32 0
		.amdhsa_float_round_mode_16_64 0
		.amdhsa_float_denorm_mode_32 3
		.amdhsa_float_denorm_mode_16_64 3
		.amdhsa_dx10_clamp 1
		.amdhsa_ieee_mode 1
		.amdhsa_fp16_overflow 0
		.amdhsa_workgroup_processor_mode 1
		.amdhsa_memory_ordered 1
		.amdhsa_forward_progress 0
		.amdhsa_shared_vgpr_count 0
		.amdhsa_exception_fp_ieee_invalid_op 0
		.amdhsa_exception_fp_denorm_src 0
		.amdhsa_exception_fp_ieee_div_zero 0
		.amdhsa_exception_fp_ieee_overflow 0
		.amdhsa_exception_fp_ieee_underflow 0
		.amdhsa_exception_fp_ieee_inexact 0
		.amdhsa_exception_int_div_zero 0
	.end_amdhsa_kernel
	.text
.Lfunc_end0:
	.size	fft_rtc_back_len1352_factors_2_13_13_4_wgs_52_tpt_52_halfLds_half_op_CI_CI_unitstride_sbrr_R2C_dirReg, .Lfunc_end0-fft_rtc_back_len1352_factors_2_13_13_4_wgs_52_tpt_52_halfLds_half_op_CI_CI_unitstride_sbrr_R2C_dirReg
                                        ; -- End function
	.section	.AMDGPU.csdata,"",@progbits
; Kernel info:
; codeLenInByte = 22948
; NumSgprs: 29
; NumVgprs: 160
; ScratchSize: 0
; MemoryBound: 0
; FloatMode: 240
; IeeeMode: 1
; LDSByteSize: 0 bytes/workgroup (compile time only)
; SGPRBlocks: 3
; VGPRBlocks: 19
; NumSGPRsForWavesPerEU: 29
; NumVGPRsForWavesPerEU: 160
; Occupancy: 6
; WaveLimiterHint : 1
; COMPUTE_PGM_RSRC2:SCRATCH_EN: 0
; COMPUTE_PGM_RSRC2:USER_SGPR: 6
; COMPUTE_PGM_RSRC2:TRAP_HANDLER: 0
; COMPUTE_PGM_RSRC2:TGID_X_EN: 1
; COMPUTE_PGM_RSRC2:TGID_Y_EN: 0
; COMPUTE_PGM_RSRC2:TGID_Z_EN: 0
; COMPUTE_PGM_RSRC2:TIDIG_COMP_CNT: 0
	.text
	.p2alignl 6, 3214868480
	.fill 48, 4, 3214868480
	.type	__hip_cuid_e5a0ef3a2431879,@object ; @__hip_cuid_e5a0ef3a2431879
	.section	.bss,"aw",@nobits
	.globl	__hip_cuid_e5a0ef3a2431879
__hip_cuid_e5a0ef3a2431879:
	.byte	0                               ; 0x0
	.size	__hip_cuid_e5a0ef3a2431879, 1

	.ident	"AMD clang version 19.0.0git (https://github.com/RadeonOpenCompute/llvm-project roc-6.4.0 25133 c7fe45cf4b819c5991fe208aaa96edf142730f1d)"
	.section	".note.GNU-stack","",@progbits
	.addrsig
	.addrsig_sym __hip_cuid_e5a0ef3a2431879
	.amdgpu_metadata
---
amdhsa.kernels:
  - .args:
      - .actual_access:  read_only
        .address_space:  global
        .offset:         0
        .size:           8
        .value_kind:     global_buffer
      - .offset:         8
        .size:           8
        .value_kind:     by_value
      - .actual_access:  read_only
        .address_space:  global
        .offset:         16
        .size:           8
        .value_kind:     global_buffer
      - .actual_access:  read_only
        .address_space:  global
        .offset:         24
        .size:           8
        .value_kind:     global_buffer
      - .actual_access:  read_only
        .address_space:  global
        .offset:         32
        .size:           8
        .value_kind:     global_buffer
      - .offset:         40
        .size:           8
        .value_kind:     by_value
      - .actual_access:  read_only
        .address_space:  global
        .offset:         48
        .size:           8
        .value_kind:     global_buffer
      - .actual_access:  read_only
        .address_space:  global
        .offset:         56
        .size:           8
        .value_kind:     global_buffer
      - .offset:         64
        .size:           4
        .value_kind:     by_value
      - .actual_access:  read_only
        .address_space:  global
        .offset:         72
        .size:           8
        .value_kind:     global_buffer
      - .actual_access:  read_only
        .address_space:  global
        .offset:         80
        .size:           8
        .value_kind:     global_buffer
      - .actual_access:  read_only
        .address_space:  global
        .offset:         88
        .size:           8
        .value_kind:     global_buffer
      - .actual_access:  write_only
        .address_space:  global
        .offset:         96
        .size:           8
        .value_kind:     global_buffer
    .group_segment_fixed_size: 0
    .kernarg_segment_align: 8
    .kernarg_segment_size: 104
    .language:       OpenCL C
    .language_version:
      - 2
      - 0
    .max_flat_workgroup_size: 52
    .name:           fft_rtc_back_len1352_factors_2_13_13_4_wgs_52_tpt_52_halfLds_half_op_CI_CI_unitstride_sbrr_R2C_dirReg
    .private_segment_fixed_size: 0
    .sgpr_count:     29
    .sgpr_spill_count: 0
    .symbol:         fft_rtc_back_len1352_factors_2_13_13_4_wgs_52_tpt_52_halfLds_half_op_CI_CI_unitstride_sbrr_R2C_dirReg.kd
    .uniform_work_group_size: 1
    .uses_dynamic_stack: false
    .vgpr_count:     160
    .vgpr_spill_count: 0
    .wavefront_size: 32
    .workgroup_processor_mode: 1
amdhsa.target:   amdgcn-amd-amdhsa--gfx1030
amdhsa.version:
  - 1
  - 2
...

	.end_amdgpu_metadata
